;; amdgpu-corpus repo=zjin-lcf/HeCBench kind=compiled arch=gfx906 opt=O3
	.amdgcn_target "amdgcn-amd-amdhsa--gfx906"
	.amdhsa_code_object_version 6
	.text
	.protected	_Z22pad_projections_kernelPdiiii ; -- Begin function _Z22pad_projections_kernelPdiiii
	.globl	_Z22pad_projections_kernelPdiiii
	.p2align	8
	.type	_Z22pad_projections_kernelPdiiii,@function
_Z22pad_projections_kernelPdiiii:       ; @_Z22pad_projections_kernelPdiiii
; %bb.0:
	s_load_dword s7, s[4:5], 0x24
	s_load_dwordx4 s[0:3], s[4:5], 0x8
	s_waitcnt lgkmcnt(0)
	s_and_b32 s7, s7, 0xffff
	s_mul_i32 s6, s6, s7
	v_add_u32_e32 v0, s6, v0
	v_cmp_gt_i32_e32 vcc, s2, v0
	s_and_saveexec_b64 s[6:7], vcc
	s_cbranch_execz .LBB0_2
; %bb.1:
	s_mul_i32 s0, s3, s0
	v_add_u32_e32 v0, s0, v0
	v_mul_lo_u32 v0, v0, s1
	s_load_dwordx2 s[4:5], s[4:5], 0x0
	v_ashrrev_i32_e32 v1, 31, v0
	v_lshlrev_b64 v[0:1], 3, v[0:1]
	s_waitcnt lgkmcnt(0)
	v_mov_b32_e32 v2, s5
	v_add_co_u32_e32 v0, vcc, s4, v0
	v_addc_co_u32_e32 v1, vcc, v2, v1, vcc
	v_mov_b32_e32 v2, 0
	v_mov_b32_e32 v3, v2
	global_store_dwordx2 v[0:1], v[2:3], off
.LBB0_2:
	s_endpgm
	.section	.rodata,"a",@progbits
	.p2align	6, 0x0
	.amdhsa_kernel _Z22pad_projections_kernelPdiiii
		.amdhsa_group_segment_fixed_size 0
		.amdhsa_private_segment_fixed_size 0
		.amdhsa_kernarg_size 280
		.amdhsa_user_sgpr_count 6
		.amdhsa_user_sgpr_private_segment_buffer 1
		.amdhsa_user_sgpr_dispatch_ptr 0
		.amdhsa_user_sgpr_queue_ptr 0
		.amdhsa_user_sgpr_kernarg_segment_ptr 1
		.amdhsa_user_sgpr_dispatch_id 0
		.amdhsa_user_sgpr_flat_scratch_init 0
		.amdhsa_user_sgpr_private_segment_size 0
		.amdhsa_uses_dynamic_stack 0
		.amdhsa_system_sgpr_private_segment_wavefront_offset 0
		.amdhsa_system_sgpr_workgroup_id_x 1
		.amdhsa_system_sgpr_workgroup_id_y 0
		.amdhsa_system_sgpr_workgroup_id_z 0
		.amdhsa_system_sgpr_workgroup_info 0
		.amdhsa_system_vgpr_workitem_id 0
		.amdhsa_next_free_vgpr 4
		.amdhsa_next_free_sgpr 8
		.amdhsa_reserve_vcc 1
		.amdhsa_reserve_flat_scratch 0
		.amdhsa_float_round_mode_32 0
		.amdhsa_float_round_mode_16_64 0
		.amdhsa_float_denorm_mode_32 3
		.amdhsa_float_denorm_mode_16_64 3
		.amdhsa_dx10_clamp 1
		.amdhsa_ieee_mode 1
		.amdhsa_fp16_overflow 0
		.amdhsa_exception_fp_ieee_invalid_op 0
		.amdhsa_exception_fp_denorm_src 0
		.amdhsa_exception_fp_ieee_div_zero 0
		.amdhsa_exception_fp_ieee_overflow 0
		.amdhsa_exception_fp_ieee_underflow 0
		.amdhsa_exception_fp_ieee_inexact 0
		.amdhsa_exception_int_div_zero 0
	.end_amdhsa_kernel
	.text
.Lfunc_end0:
	.size	_Z22pad_projections_kernelPdiiii, .Lfunc_end0-_Z22pad_projections_kernelPdiiii
                                        ; -- End function
	.set _Z22pad_projections_kernelPdiiii.num_vgpr, 4
	.set _Z22pad_projections_kernelPdiiii.num_agpr, 0
	.set _Z22pad_projections_kernelPdiiii.numbered_sgpr, 8
	.set _Z22pad_projections_kernelPdiiii.num_named_barrier, 0
	.set _Z22pad_projections_kernelPdiiii.private_seg_size, 0
	.set _Z22pad_projections_kernelPdiiii.uses_vcc, 1
	.set _Z22pad_projections_kernelPdiiii.uses_flat_scratch, 0
	.set _Z22pad_projections_kernelPdiiii.has_dyn_sized_stack, 0
	.set _Z22pad_projections_kernelPdiiii.has_recursion, 0
	.set _Z22pad_projections_kernelPdiiii.has_indirect_call, 0
	.section	.AMDGPU.csdata,"",@progbits
; Kernel info:
; codeLenInByte = 120
; TotalNumSgprs: 12
; NumVgprs: 4
; ScratchSize: 0
; MemoryBound: 0
; FloatMode: 240
; IeeeMode: 1
; LDSByteSize: 0 bytes/workgroup (compile time only)
; SGPRBlocks: 1
; VGPRBlocks: 0
; NumSGPRsForWavesPerEU: 12
; NumVGPRsForWavesPerEU: 4
; Occupancy: 10
; WaveLimiterHint : 0
; COMPUTE_PGM_RSRC2:SCRATCH_EN: 0
; COMPUTE_PGM_RSRC2:USER_SGPR: 6
; COMPUTE_PGM_RSRC2:TRAP_HANDLER: 0
; COMPUTE_PGM_RSRC2:TGID_X_EN: 1
; COMPUTE_PGM_RSRC2:TGID_Y_EN: 0
; COMPUTE_PGM_RSRC2:TGID_Z_EN: 0
; COMPUTE_PGM_RSRC2:TIDIG_COMP_CNT: 0
	.text
	.protected	_Z20map_boudaries_kernelPdiddd ; -- Begin function _Z20map_boudaries_kernelPdiddd
	.globl	_Z20map_boudaries_kernelPdiddd
	.p2align	8
	.type	_Z20map_boudaries_kernelPdiddd,@function
_Z20map_boudaries_kernelPdiddd:         ; @_Z20map_boudaries_kernelPdiddd
; %bb.0:
	s_load_dword s0, s[4:5], 0x34
	s_load_dword s1, s[4:5], 0x8
	s_waitcnt lgkmcnt(0)
	s_and_b32 s0, s0, 0xffff
	s_mul_i32 s6, s6, s0
	v_add_u32_e32 v0, s6, v0
	v_cmp_gt_i32_e32 vcc, s1, v0
	s_and_saveexec_b64 s[0:1], vcc
	s_cbranch_execz .LBB1_2
; %bb.1:
	s_load_dwordx4 s[0:3], s[4:5], 0x10
	v_cvt_f64_i32_e32 v[1:2], v0
	s_waitcnt lgkmcnt(0)
	v_add_f64 v[1:2], v[1:2], -s[0:1]
	s_load_dwordx2 s[0:1], s[4:5], 0x20
	s_load_dwordx2 s[6:7], s[4:5], 0x0
	s_waitcnt lgkmcnt(0)
	v_mov_b32_e32 v3, s0
	v_mov_b32_e32 v4, s1
	v_fma_f64 v[2:3], s[2:3], v[1:2], v[3:4]
	v_ashrrev_i32_e32 v1, 31, v0
	v_lshlrev_b64 v[0:1], 3, v[0:1]
	v_mov_b32_e32 v4, s7
	v_add_co_u32_e32 v0, vcc, s6, v0
	v_addc_co_u32_e32 v1, vcc, v4, v1, vcc
	global_store_dwordx2 v[0:1], v[2:3], off
.LBB1_2:
	s_endpgm
	.section	.rodata,"a",@progbits
	.p2align	6, 0x0
	.amdhsa_kernel _Z20map_boudaries_kernelPdiddd
		.amdhsa_group_segment_fixed_size 0
		.amdhsa_private_segment_fixed_size 0
		.amdhsa_kernarg_size 296
		.amdhsa_user_sgpr_count 6
		.amdhsa_user_sgpr_private_segment_buffer 1
		.amdhsa_user_sgpr_dispatch_ptr 0
		.amdhsa_user_sgpr_queue_ptr 0
		.amdhsa_user_sgpr_kernarg_segment_ptr 1
		.amdhsa_user_sgpr_dispatch_id 0
		.amdhsa_user_sgpr_flat_scratch_init 0
		.amdhsa_user_sgpr_private_segment_size 0
		.amdhsa_uses_dynamic_stack 0
		.amdhsa_system_sgpr_private_segment_wavefront_offset 0
		.amdhsa_system_sgpr_workgroup_id_x 1
		.amdhsa_system_sgpr_workgroup_id_y 0
		.amdhsa_system_sgpr_workgroup_id_z 0
		.amdhsa_system_sgpr_workgroup_info 0
		.amdhsa_system_vgpr_workitem_id 0
		.amdhsa_next_free_vgpr 5
		.amdhsa_next_free_sgpr 8
		.amdhsa_reserve_vcc 1
		.amdhsa_reserve_flat_scratch 0
		.amdhsa_float_round_mode_32 0
		.amdhsa_float_round_mode_16_64 0
		.amdhsa_float_denorm_mode_32 3
		.amdhsa_float_denorm_mode_16_64 3
		.amdhsa_dx10_clamp 1
		.amdhsa_ieee_mode 1
		.amdhsa_fp16_overflow 0
		.amdhsa_exception_fp_ieee_invalid_op 0
		.amdhsa_exception_fp_denorm_src 0
		.amdhsa_exception_fp_ieee_div_zero 0
		.amdhsa_exception_fp_ieee_overflow 0
		.amdhsa_exception_fp_ieee_underflow 0
		.amdhsa_exception_fp_ieee_inexact 0
		.amdhsa_exception_int_div_zero 0
	.end_amdhsa_kernel
	.text
.Lfunc_end1:
	.size	_Z20map_boudaries_kernelPdiddd, .Lfunc_end1-_Z20map_boudaries_kernelPdiddd
                                        ; -- End function
	.set _Z20map_boudaries_kernelPdiddd.num_vgpr, 5
	.set _Z20map_boudaries_kernelPdiddd.num_agpr, 0
	.set _Z20map_boudaries_kernelPdiddd.numbered_sgpr, 8
	.set _Z20map_boudaries_kernelPdiddd.num_named_barrier, 0
	.set _Z20map_boudaries_kernelPdiddd.private_seg_size, 0
	.set _Z20map_boudaries_kernelPdiddd.uses_vcc, 1
	.set _Z20map_boudaries_kernelPdiddd.uses_flat_scratch, 0
	.set _Z20map_boudaries_kernelPdiddd.has_dyn_sized_stack, 0
	.set _Z20map_boudaries_kernelPdiddd.has_recursion, 0
	.set _Z20map_boudaries_kernelPdiddd.has_indirect_call, 0
	.section	.AMDGPU.csdata,"",@progbits
; Kernel info:
; codeLenInByte = 144
; TotalNumSgprs: 12
; NumVgprs: 5
; ScratchSize: 0
; MemoryBound: 0
; FloatMode: 240
; IeeeMode: 1
; LDSByteSize: 0 bytes/workgroup (compile time only)
; SGPRBlocks: 1
; VGPRBlocks: 1
; NumSGPRsForWavesPerEU: 12
; NumVGPRsForWavesPerEU: 5
; Occupancy: 10
; WaveLimiterHint : 0
; COMPUTE_PGM_RSRC2:SCRATCH_EN: 0
; COMPUTE_PGM_RSRC2:USER_SGPR: 6
; COMPUTE_PGM_RSRC2:TRAP_HANDLER: 0
; COMPUTE_PGM_RSRC2:TGID_X_EN: 1
; COMPUTE_PGM_RSRC2:TGID_Y_EN: 0
; COMPUTE_PGM_RSRC2:TGID_Z_EN: 0
; COMPUTE_PGM_RSRC2:TIDIG_COMP_CNT: 0
	.text
	.protected	_Z19rot_detector_kernelPdS_PKdS1_dddi ; -- Begin function _Z19rot_detector_kernelPdS_PKdS1_dddi
	.globl	_Z19rot_detector_kernelPdS_PKdS1_dddi
	.p2align	8
	.type	_Z19rot_detector_kernelPdS_PKdS1_dddi,@function
_Z19rot_detector_kernelPdS_PKdS1_dddi:  ; @_Z19rot_detector_kernelPdS_PKdS1_dddi
; %bb.0:
	s_load_dword s0, s[4:5], 0x4c
	s_load_dword s1, s[4:5], 0x38
	s_waitcnt lgkmcnt(0)
	s_and_b32 s0, s0, 0xffff
	s_mul_i32 s6, s6, s0
	v_add_u32_e32 v0, s6, v0
	v_cmp_gt_i32_e32 vcc, s1, v0
	s_and_saveexec_b64 s[0:1], vcc
	s_cbranch_execz .LBB2_18
; %bb.1:
	s_load_dwordx4 s[0:3], s[4:5], 0x10
	s_load_dwordx2 s[6:7], s[4:5], 0x30
	v_ashrrev_i32_e32 v1, 31, v0
	v_lshlrev_b64 v[0:1], 3, v[0:1]
	v_mov_b32_e32 v10, 0
	s_waitcnt lgkmcnt(0)
	v_mov_b32_e32 v3, s1
	v_add_co_u32_e32 v2, vcc, s0, v0
	v_addc_co_u32_e32 v3, vcc, v3, v1, vcc
	global_load_dwordx2 v[8:9], v[2:3], off
	v_trig_preop_f64 v[6:7], |s[6:7]|, 0
	v_trig_preop_f64 v[4:5], |s[6:7]|, 1
	;; [unrolled: 1-line block ×3, first 2 shown]
	v_mov_b32_e32 v11, 0x41d00000
	v_cmp_nlt_f64_e64 s[12:13], |s[6:7]|, v[10:11]
	s_and_b64 vcc, exec, s[12:13]
	s_cbranch_vccz .LBB2_3
; %bb.2:
	v_mov_b32_e32 v10, 0
	v_mov_b32_e32 v11, 0x7b000000
	;; [unrolled: 1-line block ×3, first 2 shown]
	v_ldexp_f64 v[12:13], |s[6:7]|, v12
	v_cmp_ge_f64_e64 vcc, |s[6:7]|, v[10:11]
	s_and_b32 s0, s7, 0x7fffffff
	v_mov_b32_e32 v14, s0
	v_mov_b32_e32 v10, s6
	s_mov_b32 s0, 0
	s_mov_b32 s1, 0x7ff00000
	;; [unrolled: 1-line block ×3, first 2 shown]
	v_cndmask_b32_e32 v11, v14, v13, vcc
	v_cndmask_b32_e32 v10, v10, v12, vcc
	v_mul_f64 v[12:13], v[6:7], v[10:11]
	v_mul_f64 v[14:15], v[4:5], v[10:11]
	;; [unrolled: 1-line block ×3, first 2 shown]
	v_fma_f64 v[16:17], v[6:7], v[10:11], -v[12:13]
	v_fma_f64 v[26:27], v[4:5], v[10:11], -v[14:15]
	;; [unrolled: 1-line block ×3, first 2 shown]
	v_add_f64 v[18:19], v[14:15], v[16:17]
	v_add_f64 v[20:21], v[18:19], -v[14:15]
	v_add_f64 v[28:29], v[12:13], v[18:19]
	v_add_f64 v[22:23], v[18:19], -v[20:21]
	v_add_f64 v[16:17], v[16:17], -v[20:21]
	v_add_f64 v[20:21], v[24:25], v[26:27]
	v_add_f64 v[12:13], v[28:29], -v[12:13]
	v_add_f64 v[14:15], v[14:15], -v[22:23]
	v_ldexp_f64 v[22:23], v[28:29], -2
	v_add_f64 v[12:13], v[18:19], -v[12:13]
	v_add_f64 v[14:15], v[16:17], v[14:15]
	v_fract_f64_e32 v[16:17], v[22:23]
	v_cmp_neq_f64_e64 vcc, |v[22:23]|, s[0:1]
	v_add_f64 v[18:19], v[20:21], v[14:15]
	v_ldexp_f64 v[16:17], v[16:17], 2
	v_add_f64 v[22:23], v[12:13], v[18:19]
	v_cndmask_b32_e32 v17, 0, v17, vcc
	v_cndmask_b32_e32 v16, 0, v16, vcc
	v_add_f64 v[30:31], v[18:19], -v[20:21]
	v_add_f64 v[28:29], v[22:23], v[16:17]
	v_add_f64 v[12:13], v[22:23], -v[12:13]
	v_add_f64 v[34:35], v[18:19], -v[30:31]
	;; [unrolled: 1-line block ×3, first 2 shown]
	v_cmp_gt_f64_e32 vcc, 0, v[28:29]
	v_add_f64 v[28:29], v[20:21], -v[24:25]
	v_add_f64 v[12:13], v[18:19], -v[12:13]
	s_and_b64 s[0:1], vcc, exec
	s_cselect_b32 s9, 0x40100000, 0
	v_add_f64 v[16:17], v[16:17], s[8:9]
	v_add_f64 v[32:33], v[20:21], -v[28:29]
	v_add_f64 v[26:27], v[26:27], -v[28:29]
	;; [unrolled: 1-line block ×3, first 2 shown]
	v_add_f64 v[36:37], v[22:23], v[16:17]
	v_add_f64 v[28:29], v[24:25], -v[32:33]
	v_add_f64 v[14:15], v[14:15], v[20:21]
	v_cvt_i32_f64_e32 v32, v[36:37]
	v_add_f64 v[26:27], v[26:27], v[28:29]
	v_cvt_f64_i32_e32 v[30:31], v32
	v_add_f64 v[16:17], v[16:17], -v[30:31]
	v_add_f64 v[14:15], v[26:27], v[14:15]
	v_add_f64 v[20:21], v[22:23], v[16:17]
	;; [unrolled: 1-line block ×3, first 2 shown]
	v_add_f64 v[14:15], v[20:21], -v[16:17]
	v_cmp_le_f64_e32 vcc, 0.5, v[20:21]
	v_add_f64 v[10:11], v[12:13], v[10:11]
	v_add_f64 v[12:13], v[22:23], -v[14:15]
	s_and_b64 s[0:1], vcc, exec
	s_cselect_b32 s9, 0x3ff00000, 0
	v_addc_co_u32_e64 v26, s[0:1], 0, v32, vcc
	s_mov_b32 s0, 0x54442d18
	s_mov_b32 s1, 0x3ff921fb
	v_add_f64 v[10:11], v[10:11], v[12:13]
	v_add_f64 v[12:13], v[20:21], -s[8:9]
	s_mov_b32 s8, 0x33145c07
	s_mov_b32 s9, 0x3c91a626
	v_add_f64 v[14:15], v[12:13], v[10:11]
	v_mul_f64 v[16:17], v[14:15], s[0:1]
	v_add_f64 v[12:13], v[14:15], -v[12:13]
	v_fma_f64 v[18:19], v[14:15], s[0:1], -v[16:17]
	v_add_f64 v[10:11], v[10:11], -v[12:13]
	v_fma_f64 v[12:13], v[14:15], s[8:9], v[18:19]
	v_fma_f64 v[12:13], v[10:11], s[0:1], v[12:13]
	v_add_f64 v[10:11], v[16:17], v[12:13]
	v_add_f64 v[14:15], v[10:11], -v[16:17]
	v_add_f64 v[12:13], v[12:13], -v[14:15]
	s_load_dwordx4 s[8:11], s[4:5], 0x20
	s_cbranch_execz .LBB2_4
	s_branch .LBB2_5
.LBB2_3:
                                        ; implicit-def: $vgpr26
                                        ; implicit-def: $vgpr10_vgpr11
                                        ; implicit-def: $vgpr12_vgpr13
	s_load_dwordx4 s[8:11], s[4:5], 0x20
.LBB2_4:
	v_mov_b32_e32 v10, 0x6dc9c883
	v_mov_b32_e32 v11, 0x3fe45f30
	v_mul_f64 v[10:11], |s[6:7]|, v[10:11]
	s_mov_b32 s0, 0x54442d18
	s_mov_b32 s1, 0xbff921fb
	;; [unrolled: 1-line block ×4, first 2 shown]
	v_rndne_f64_e32 v[14:15], v[10:11]
	v_mov_b32_e32 v11, s7
	v_mov_b32_e32 v10, s6
	v_fma_f64 v[10:11], v[14:15], s[0:1], |v[10:11]|
	v_mul_f64 v[12:13], v[14:15], s[14:15]
	s_mov_b32 s0, 0x252049c0
	s_mov_b32 s1, 0xb97b839a
	v_cvt_i32_f64_e32 v26, v[14:15]
	v_fma_f64 v[20:21], v[14:15], s[14:15], v[10:11]
	v_add_f64 v[16:17], v[10:11], v[12:13]
	s_mov_b32 s15, 0x3c91a626
	v_add_f64 v[18:19], v[10:11], -v[16:17]
	v_add_f64 v[16:17], v[16:17], -v[20:21]
	v_add_f64 v[10:11], v[18:19], v[12:13]
	v_fma_f64 v[12:13], v[14:15], s[14:15], v[12:13]
	v_add_f64 v[10:11], v[16:17], v[10:11]
	v_add_f64 v[10:11], v[10:11], -v[12:13]
	v_fma_f64 v[12:13], v[14:15], s[0:1], v[10:11]
	v_add_f64 v[10:11], v[20:21], v[12:13]
	v_add_f64 v[16:17], v[10:11], -v[20:21]
	v_add_f64 v[12:13], v[12:13], -v[16:17]
.LBB2_5:
	v_mov_b32_e32 v15, s3
	v_add_co_u32_e32 v14, vcc, s2, v0
	v_addc_co_u32_e32 v15, vcc, v15, v1, vcc
	global_load_dwordx2 v[16:17], v[14:15], off
	s_load_dwordx2 s[2:3], s[4:5], 0x0
	s_and_b64 vcc, exec, s[12:13]
	s_cbranch_vccz .LBB2_7
; %bb.6:
	v_mov_b32_e32 v14, 0
	v_mov_b32_e32 v15, 0x7b000000
	;; [unrolled: 1-line block ×3, first 2 shown]
	v_ldexp_f64 v[18:19], |s[6:7]|, v18
	v_cmp_ge_f64_e64 vcc, |s[6:7]|, v[14:15]
	s_and_b32 s0, s7, 0x7fffffff
	v_mov_b32_e32 v20, s0
	v_mov_b32_e32 v14, s6
	s_mov_b32 s0, 0
	s_mov_b32 s1, 0x7ff00000
	v_cndmask_b32_e32 v15, v20, v19, vcc
	v_cndmask_b32_e32 v14, v14, v18, vcc
	v_mul_f64 v[18:19], v[6:7], v[14:15]
	v_mul_f64 v[20:21], v[4:5], v[14:15]
	;; [unrolled: 1-line block ×3, first 2 shown]
	v_fma_f64 v[22:23], v[6:7], v[14:15], -v[18:19]
	v_fma_f64 v[33:34], v[4:5], v[14:15], -v[20:21]
	;; [unrolled: 1-line block ×3, first 2 shown]
	v_add_f64 v[24:25], v[20:21], v[22:23]
	v_add_f64 v[27:28], v[24:25], -v[20:21]
	v_add_f64 v[35:36], v[18:19], v[24:25]
	v_add_f64 v[29:30], v[24:25], -v[27:28]
	v_add_f64 v[22:23], v[22:23], -v[27:28]
	v_add_f64 v[27:28], v[31:32], v[33:34]
	v_add_f64 v[18:19], v[35:36], -v[18:19]
	v_add_f64 v[20:21], v[20:21], -v[29:30]
	v_ldexp_f64 v[29:30], v[35:36], -2
	v_add_f64 v[18:19], v[24:25], -v[18:19]
	v_add_f64 v[20:21], v[22:23], v[20:21]
	v_fract_f64_e32 v[22:23], v[29:30]
	v_cmp_neq_f64_e64 vcc, |v[29:30]|, s[0:1]
	s_mov_b32 s0, 0
	v_add_f64 v[24:25], v[27:28], v[20:21]
	v_ldexp_f64 v[22:23], v[22:23], 2
	v_add_f64 v[29:30], v[18:19], v[24:25]
	v_cndmask_b32_e32 v23, 0, v23, vcc
	v_cndmask_b32_e32 v22, 0, v22, vcc
	v_add_f64 v[37:38], v[24:25], -v[27:28]
	v_add_f64 v[35:36], v[29:30], v[22:23]
	v_add_f64 v[18:19], v[29:30], -v[18:19]
	v_add_f64 v[41:42], v[24:25], -v[37:38]
	;; [unrolled: 1-line block ×3, first 2 shown]
	v_cmp_gt_f64_e32 vcc, 0, v[35:36]
	v_add_f64 v[35:36], v[27:28], -v[31:32]
	v_add_f64 v[18:19], v[24:25], -v[18:19]
	s_and_b64 s[14:15], vcc, exec
	s_cselect_b32 s1, 0x40100000, 0
	v_add_f64 v[22:23], v[22:23], s[0:1]
	v_add_f64 v[39:40], v[27:28], -v[35:36]
	v_add_f64 v[33:34], v[33:34], -v[35:36]
	;; [unrolled: 1-line block ×3, first 2 shown]
	v_add_f64 v[43:44], v[29:30], v[22:23]
	v_add_f64 v[35:36], v[31:32], -v[39:40]
	v_add_f64 v[20:21], v[20:21], v[27:28]
	v_cvt_i32_f64_e32 v39, v[43:44]
	v_add_f64 v[33:34], v[33:34], v[35:36]
	v_cvt_f64_i32_e32 v[37:38], v39
	v_readfirstlane_b32 s1, v39
	v_add_f64 v[22:23], v[22:23], -v[37:38]
	v_add_f64 v[20:21], v[33:34], v[20:21]
	v_add_f64 v[27:28], v[29:30], v[22:23]
	;; [unrolled: 1-line block ×3, first 2 shown]
	v_add_f64 v[20:21], v[27:28], -v[22:23]
	v_cmp_le_f64_e32 vcc, 0.5, v[27:28]
	v_add_f64 v[14:15], v[18:19], v[14:15]
	v_add_f64 v[18:19], v[29:30], -v[20:21]
	s_cmp_lg_u64 vcc, 0
	s_addc_u32 s15, s1, 0
	s_and_b64 s[16:17], vcc, exec
	s_cselect_b32 s1, 0x3ff00000, 0
	s_mov_b32 s16, 0x33145c07
	s_mov_b32 s17, 0x3c91a626
	v_add_f64 v[14:15], v[14:15], v[18:19]
	v_add_f64 v[18:19], v[27:28], -s[0:1]
	s_mov_b32 s0, 0x54442d18
	s_mov_b32 s1, 0x3ff921fb
	v_add_f64 v[20:21], v[18:19], v[14:15]
	v_mul_f64 v[22:23], v[20:21], s[0:1]
	v_add_f64 v[18:19], v[20:21], -v[18:19]
	v_fma_f64 v[24:25], v[20:21], s[0:1], -v[22:23]
	v_add_f64 v[14:15], v[14:15], -v[18:19]
	v_fma_f64 v[18:19], v[20:21], s[16:17], v[24:25]
	v_fma_f64 v[18:19], v[14:15], s[0:1], v[18:19]
	v_add_f64 v[14:15], v[22:23], v[18:19]
	v_add_f64 v[20:21], v[14:15], -v[22:23]
	v_add_f64 v[18:19], v[18:19], -v[20:21]
	s_cbranch_execz .LBB2_8
	s_branch .LBB2_9
.LBB2_7:
                                        ; implicit-def: $sgpr15
                                        ; implicit-def: $vgpr14_vgpr15
                                        ; implicit-def: $vgpr18_vgpr19
.LBB2_8:
	v_mov_b32_e32 v14, 0x6dc9c883
	v_mov_b32_e32 v15, 0x3fe45f30
	v_mul_f64 v[14:15], |s[6:7]|, v[14:15]
	s_mov_b32 s0, 0x54442d18
	s_mov_b32 s1, 0xbff921fb
	;; [unrolled: 1-line block ×4, first 2 shown]
	v_rndne_f64_e32 v[20:21], v[14:15]
	v_mov_b32_e32 v15, s7
	v_mov_b32_e32 v14, s6
	v_fma_f64 v[14:15], v[20:21], s[0:1], |v[14:15]|
	v_mul_f64 v[18:19], v[20:21], s[14:15]
	s_mov_b32 s0, 0x252049c0
	s_mov_b32 s1, 0xb97b839a
	v_fma_f64 v[27:28], v[20:21], s[14:15], v[14:15]
	v_add_f64 v[22:23], v[14:15], v[18:19]
	s_mov_b32 s15, 0x3c91a626
	v_add_f64 v[24:25], v[14:15], -v[22:23]
	v_add_f64 v[22:23], v[22:23], -v[27:28]
	v_add_f64 v[14:15], v[24:25], v[18:19]
	v_fma_f64 v[18:19], v[20:21], s[14:15], v[18:19]
	v_add_f64 v[14:15], v[22:23], v[14:15]
	v_add_f64 v[14:15], v[14:15], -v[18:19]
	v_fma_f64 v[18:19], v[20:21], s[0:1], v[14:15]
	v_cvt_i32_f64_e32 v20, v[20:21]
	v_readfirstlane_b32 s15, v20
	v_add_f64 v[14:15], v[27:28], v[18:19]
	v_add_f64 v[22:23], v[14:15], -v[27:28]
	v_add_f64 v[18:19], v[18:19], -v[22:23]
.LBB2_9:
	v_mul_f64 v[24:25], v[10:11], v[10:11]
	s_mov_b32 s0, 0x9037ab78
	s_mov_b32 s1, 0x3e21eeb6
	;; [unrolled: 1-line block ×7, first 2 shown]
	v_mul_f64 v[20:21], v[24:25], 0.5
	s_mov_b32 s25, 0x3efa01a0
	s_mov_b32 s26, 0x16c16967
	;; [unrolled: 1-line block ×5, first 2 shown]
	v_mul_f64 v[29:30], v[24:25], v[24:25]
	s_mov_b32 s16, 0xf9a43bb8
	v_add_f64 v[22:23], -v[20:21], 1.0
	s_mov_b32 s17, 0x3de5e0b2
	s_mov_b32 s34, 0x796cde01
	s_mov_b32 s35, 0x3ec71de3
	s_mov_b32 s36, 0x19e83e5c
	s_mov_b32 s37, 0xbf2a01a0
	s_mov_b32 s30, 0x11110bb3
	s_mov_b32 s31, 0x3f811111
	v_add_f64 v[27:28], -v[22:23], 1.0
	v_mul_f64 v[33:34], v[12:13], 0.5
	s_mov_b32 s21, 0xbfc55555
	s_mov_b32 s20, s28
	s_bitcmp0_b32 s15, 0
	s_waitcnt vmcnt(1) lgkmcnt(0)
	v_add_f64 v[8:9], v[8:9], -s[8:9]
	s_mov_b32 s14, 0
	v_add_f64 v[27:28], v[27:28], -v[20:21]
	v_mov_b32_e32 v21, s1
	v_mov_b32_e32 v20, s0
	v_fma_f64 v[31:32], v[24:25], s[18:19], v[20:21]
	s_mov_b32 s0, 0xb42fdfa7
	s_mov_b32 s1, 0xbe5ae600
	v_fma_f64 v[27:28], v[10:11], -v[12:13], v[27:28]
	v_fma_f64 v[31:32], v[24:25], v[31:32], s[22:23]
	v_fma_f64 v[31:32], v[24:25], v[31:32], s[24:25]
	;; [unrolled: 1-line block ×5, first 2 shown]
	v_mul_f64 v[31:32], v[10:11], -v[24:25]
	v_add_f64 v[27:28], v[22:23], v[27:28]
	v_mov_b32_e32 v23, s1
	v_mov_b32_e32 v22, s0
	v_fma_f64 v[29:30], v[24:25], s[16:17], v[22:23]
	v_fma_f64 v[29:30], v[24:25], v[29:30], s[34:35]
	;; [unrolled: 1-line block ×5, first 2 shown]
	v_fma_f64 v[12:13], v[24:25], v[29:30], -v[12:13]
	v_mov_b32_e32 v24, 0x7ff80000
	v_fma_f64 v[12:13], v[31:32], s[20:21], v[12:13]
	v_add_f64 v[10:11], v[10:11], -v[12:13]
	v_and_b32_e32 v12, 1, v26
	v_cmp_eq_u32_e32 vcc, 0, v12
	v_lshlrev_b32_e32 v12, 30, v26
	v_and_b32_e32 v12, 0x80000000, v12
	v_mul_f64 v[25:26], v[14:15], v[14:15]
	v_xor_b32_e32 v11, 0x80000000, v11
	v_cndmask_b32_e32 v11, v11, v28, vcc
	v_xor_b32_e32 v11, v11, v12
	v_mov_b32_e32 v12, 0x1f8
	v_cmp_class_f64_e64 s[0:1], s[6:7], v12
	v_cndmask_b32_e32 v10, v10, v27, vcc
	v_fma_f64 v[20:21], v[25:26], s[18:19], v[20:21]
	s_cselect_b64 vcc, -1, 0
	s_lshl_b32 s15, s15, 30
	s_xor_b32 s15, s15, s7
	s_and_b32 s15, s15, 0x80000000
	v_cndmask_b32_e64 v12, 0, v10, s[0:1]
	v_cndmask_b32_e64 v13, v24, v11, s[0:1]
	s_waitcnt vmcnt(0)
	v_add_f64 v[10:11], v[16:17], -s[10:11]
	v_mul_f64 v[16:17], v[25:26], 0.5
	v_fma_f64 v[20:21], v[25:26], v[20:21], s[22:23]
	v_add_f64 v[27:28], -v[16:17], 1.0
	v_fma_f64 v[20:21], v[25:26], v[20:21], s[24:25]
	v_add_f64 v[29:30], -v[27:28], 1.0
	v_fma_f64 v[20:21], v[25:26], v[20:21], s[26:27]
	v_add_f64 v[16:17], v[29:30], -v[16:17]
	v_mul_f64 v[29:30], v[25:26], v[25:26]
	v_fma_f64 v[20:21], v[25:26], v[20:21], s[28:29]
	v_fma_f64 v[16:17], v[14:15], -v[18:19], v[16:17]
	v_fma_f64 v[16:17], v[29:30], v[20:21], v[16:17]
	v_fma_f64 v[20:21], v[25:26], s[16:17], v[22:23]
	v_mul_f64 v[22:23], v[14:15], -v[25:26]
	v_add_f64 v[16:17], v[27:28], v[16:17]
	v_fma_f64 v[20:21], v[25:26], v[20:21], s[34:35]
	v_mul_f64 v[27:28], v[18:19], 0.5
	v_fma_f64 v[20:21], v[25:26], v[20:21], s[36:37]
	v_fma_f64 v[20:21], v[25:26], v[20:21], s[30:31]
	;; [unrolled: 1-line block ×3, first 2 shown]
	v_fma_f64 v[18:19], v[25:26], v[20:21], -v[18:19]
	v_fma_f64 v[18:19], v[22:23], s[20:21], v[18:19]
	v_add_f64 v[14:15], v[14:15], -v[18:19]
	v_cndmask_b32_e32 v15, v17, v15, vcc
	v_cndmask_b32_e32 v14, v16, v14, vcc
	v_xor_b32_e32 v15, s15, v15
	v_cndmask_b32_e64 v14, 0, v14, s[0:1]
	v_cndmask_b32_e64 v15, v24, v15, s[0:1]
	v_mul_f64 v[14:15], v[10:11], v[14:15]
	v_fma_f64 v[12:13], v[8:9], v[12:13], -v[14:15]
	v_add_co_u32_e32 v14, vcc, s2, v0
	v_mov_b32_e32 v15, s3
	v_addc_co_u32_e32 v15, vcc, v15, v1, vcc
	s_and_b64 vcc, exec, s[12:13]
	v_add_f64 v[12:13], s[8:9], v[12:13]
	global_store_dwordx2 v[14:15], v[12:13], off
	s_cbranch_vccz .LBB2_11
; %bb.10:
	v_mov_b32_e32 v12, 0
	v_mov_b32_e32 v13, 0x7b000000
	;; [unrolled: 1-line block ×3, first 2 shown]
	v_ldexp_f64 v[14:15], |s[6:7]|, v14
	v_cmp_ge_f64_e64 vcc, |s[6:7]|, v[12:13]
	s_and_b32 s2, s7, 0x7fffffff
	v_mov_b32_e32 v16, s2
	v_mov_b32_e32 v12, s6
	s_mov_b32 s2, 0
	s_mov_b32 s3, 0x7ff00000
	;; [unrolled: 1-line block ×4, first 2 shown]
	v_cndmask_b32_e32 v13, v16, v15, vcc
	v_cndmask_b32_e32 v12, v12, v14, vcc
	v_mul_f64 v[14:15], v[6:7], v[12:13]
	v_mul_f64 v[16:17], v[4:5], v[12:13]
	;; [unrolled: 1-line block ×3, first 2 shown]
	v_fma_f64 v[18:19], v[6:7], v[12:13], -v[14:15]
	v_fma_f64 v[28:29], v[4:5], v[12:13], -v[16:17]
	;; [unrolled: 1-line block ×3, first 2 shown]
	v_add_f64 v[20:21], v[16:17], v[18:19]
	v_add_f64 v[22:23], v[20:21], -v[16:17]
	v_add_f64 v[30:31], v[14:15], v[20:21]
	v_add_f64 v[24:25], v[20:21], -v[22:23]
	v_add_f64 v[18:19], v[18:19], -v[22:23]
	v_add_f64 v[22:23], v[26:27], v[28:29]
	v_add_f64 v[14:15], v[30:31], -v[14:15]
	v_add_f64 v[16:17], v[16:17], -v[24:25]
	v_ldexp_f64 v[24:25], v[30:31], -2
	v_add_f64 v[14:15], v[20:21], -v[14:15]
	v_add_f64 v[16:17], v[18:19], v[16:17]
	v_fract_f64_e32 v[18:19], v[24:25]
	v_cmp_neq_f64_e64 vcc, |v[24:25]|, s[2:3]
	v_add_f64 v[20:21], v[22:23], v[16:17]
	v_ldexp_f64 v[18:19], v[18:19], 2
	v_add_f64 v[24:25], v[14:15], v[20:21]
	v_cndmask_b32_e32 v19, 0, v19, vcc
	v_cndmask_b32_e32 v18, 0, v18, vcc
	v_add_f64 v[32:33], v[20:21], -v[22:23]
	v_add_f64 v[30:31], v[24:25], v[18:19]
	v_add_f64 v[14:15], v[24:25], -v[14:15]
	v_add_f64 v[36:37], v[20:21], -v[32:33]
	;; [unrolled: 1-line block ×3, first 2 shown]
	v_cmp_gt_f64_e32 vcc, 0, v[30:31]
	v_add_f64 v[30:31], v[22:23], -v[26:27]
	v_add_f64 v[14:15], v[20:21], -v[14:15]
	s_and_b64 s[2:3], vcc, exec
	s_cselect_b32 s15, 0x40100000, 0
	v_add_f64 v[18:19], v[18:19], s[14:15]
	v_add_f64 v[34:35], v[22:23], -v[30:31]
	v_add_f64 v[28:29], v[28:29], -v[30:31]
	v_add_f64 v[22:23], v[22:23], -v[36:37]
	v_add_f64 v[38:39], v[24:25], v[18:19]
	v_add_f64 v[30:31], v[26:27], -v[34:35]
	v_add_f64 v[16:17], v[16:17], v[22:23]
	v_cvt_i32_f64_e32 v34, v[38:39]
	v_add_f64 v[28:29], v[28:29], v[30:31]
	v_cvt_f64_i32_e32 v[32:33], v34
	v_readfirstlane_b32 s2, v34
	v_add_f64 v[18:19], v[18:19], -v[32:33]
	v_add_f64 v[16:17], v[28:29], v[16:17]
	v_add_f64 v[22:23], v[24:25], v[18:19]
	;; [unrolled: 1-line block ×3, first 2 shown]
	v_add_f64 v[16:17], v[22:23], -v[18:19]
	v_cmp_le_f64_e32 vcc, 0.5, v[22:23]
	v_add_f64 v[12:13], v[14:15], v[12:13]
	v_add_f64 v[14:15], v[24:25], -v[16:17]
	s_cmp_lg_u64 vcc, 0
	s_addc_u32 s16, s2, 0
	s_and_b64 s[2:3], vcc, exec
	s_cselect_b32 s15, 0x3ff00000, 0
	s_mov_b32 s2, 0x54442d18
	s_mov_b32 s3, 0x3ff921fb
	v_add_f64 v[12:13], v[12:13], v[14:15]
	v_add_f64 v[14:15], v[22:23], -s[14:15]
	v_add_f64 v[16:17], v[14:15], v[12:13]
	v_mul_f64 v[18:19], v[16:17], s[2:3]
	v_add_f64 v[14:15], v[16:17], -v[14:15]
	v_fma_f64 v[20:21], v[16:17], s[2:3], -v[18:19]
	v_add_f64 v[12:13], v[12:13], -v[14:15]
	v_fma_f64 v[14:15], v[16:17], s[8:9], v[20:21]
	v_fma_f64 v[14:15], v[12:13], s[2:3], v[14:15]
	v_add_f64 v[12:13], v[18:19], v[14:15]
	v_add_f64 v[16:17], v[12:13], -v[18:19]
	v_add_f64 v[14:15], v[14:15], -v[16:17]
	s_cbranch_execz .LBB2_12
	s_branch .LBB2_13
.LBB2_11:
                                        ; implicit-def: $sgpr16
                                        ; implicit-def: $vgpr12_vgpr13
                                        ; implicit-def: $vgpr14_vgpr15
.LBB2_12:
	v_mov_b32_e32 v12, 0x6dc9c883
	v_mov_b32_e32 v13, 0x3fe45f30
	v_mul_f64 v[12:13], |s[6:7]|, v[12:13]
	s_mov_b32 s2, 0x54442d18
	s_mov_b32 s3, 0xbff921fb
	;; [unrolled: 1-line block ×4, first 2 shown]
	v_rndne_f64_e32 v[16:17], v[12:13]
	v_mov_b32_e32 v13, s7
	v_mov_b32_e32 v12, s6
	v_fma_f64 v[12:13], v[16:17], s[2:3], |v[12:13]|
	v_mul_f64 v[14:15], v[16:17], s[8:9]
	s_mov_b32 s2, 0x252049c0
	s_mov_b32 s3, 0xb97b839a
	v_fma_f64 v[22:23], v[16:17], s[8:9], v[12:13]
	v_add_f64 v[18:19], v[12:13], v[14:15]
	s_mov_b32 s9, 0x3c91a626
	v_add_f64 v[20:21], v[12:13], -v[18:19]
	v_add_f64 v[18:19], v[18:19], -v[22:23]
	v_add_f64 v[12:13], v[20:21], v[14:15]
	v_fma_f64 v[14:15], v[16:17], s[8:9], v[14:15]
	v_add_f64 v[12:13], v[18:19], v[12:13]
	v_add_f64 v[12:13], v[12:13], -v[14:15]
	v_fma_f64 v[14:15], v[16:17], s[2:3], v[12:13]
	v_cvt_i32_f64_e32 v16, v[16:17]
	v_readfirstlane_b32 s16, v16
	v_add_f64 v[12:13], v[22:23], v[14:15]
	v_add_f64 v[18:19], v[12:13], -v[22:23]
	v_add_f64 v[14:15], v[14:15], -v[18:19]
.LBB2_13:
	s_load_dwordx2 s[4:5], s[4:5], 0x8
	s_and_b64 vcc, exec, s[12:13]
	s_cbranch_vccz .LBB2_15
; %bb.14:
	v_mov_b32_e32 v16, 0
	v_mov_b32_e32 v17, 0x7b000000
	;; [unrolled: 1-line block ×3, first 2 shown]
	v_ldexp_f64 v[18:19], |s[6:7]|, v18
	v_cmp_ge_f64_e64 vcc, |s[6:7]|, v[16:17]
	s_and_b32 s2, s7, 0x7fffffff
	v_mov_b32_e32 v20, s2
	v_mov_b32_e32 v16, s6
	s_mov_b32 s2, 0
	s_mov_b32 s3, 0x7ff00000
	s_mov_b32 s8, 0
	v_cndmask_b32_e32 v17, v20, v19, vcc
	v_cndmask_b32_e32 v16, v16, v18, vcc
	v_mul_f64 v[18:19], v[6:7], v[16:17]
	v_mul_f64 v[20:21], v[4:5], v[16:17]
	;; [unrolled: 1-line block ×3, first 2 shown]
	v_fma_f64 v[6:7], v[6:7], v[16:17], -v[18:19]
	v_fma_f64 v[4:5], v[4:5], v[16:17], -v[20:21]
	;; [unrolled: 1-line block ×3, first 2 shown]
	v_add_f64 v[22:23], v[20:21], v[6:7]
	v_add_f64 v[24:25], v[22:23], -v[20:21]
	v_add_f64 v[30:31], v[18:19], v[22:23]
	v_add_f64 v[26:27], v[22:23], -v[24:25]
	v_add_f64 v[6:7], v[6:7], -v[24:25]
	v_add_f64 v[24:25], v[28:29], v[4:5]
	v_add_f64 v[18:19], v[30:31], -v[18:19]
	v_add_f64 v[20:21], v[20:21], -v[26:27]
	v_ldexp_f64 v[26:27], v[30:31], -2
	v_add_f64 v[18:19], v[22:23], -v[18:19]
	v_add_f64 v[6:7], v[6:7], v[20:21]
	v_fract_f64_e32 v[20:21], v[26:27]
	v_cmp_neq_f64_e64 vcc, |v[26:27]|, s[2:3]
	v_add_f64 v[22:23], v[24:25], v[6:7]
	v_ldexp_f64 v[20:21], v[20:21], 2
	v_add_f64 v[26:27], v[18:19], v[22:23]
	v_cndmask_b32_e32 v21, 0, v21, vcc
	v_cndmask_b32_e32 v20, 0, v20, vcc
	v_add_f64 v[32:33], v[22:23], -v[24:25]
	v_add_f64 v[30:31], v[26:27], v[20:21]
	v_add_f64 v[16:17], v[26:27], -v[18:19]
	v_add_f64 v[36:37], v[22:23], -v[32:33]
	;; [unrolled: 1-line block ×3, first 2 shown]
	v_cmp_gt_f64_e32 vcc, 0, v[30:31]
	v_add_f64 v[30:31], v[24:25], -v[28:29]
	v_add_f64 v[16:17], v[22:23], -v[16:17]
	s_and_b64 s[2:3], vcc, exec
	s_cselect_b32 s9, 0x40100000, 0
	v_add_f64 v[20:21], v[20:21], s[8:9]
	v_add_f64 v[34:35], v[24:25], -v[30:31]
	v_add_f64 v[4:5], v[4:5], -v[30:31]
	;; [unrolled: 1-line block ×3, first 2 shown]
	v_add_f64 v[38:39], v[26:27], v[20:21]
	v_add_f64 v[30:31], v[28:29], -v[34:35]
	v_add_f64 v[6:7], v[6:7], v[24:25]
	v_cvt_i32_f64_e32 v34, v[38:39]
	v_add_f64 v[4:5], v[4:5], v[30:31]
	v_cvt_f64_i32_e32 v[32:33], v34
	v_add_f64 v[20:21], v[20:21], -v[32:33]
	v_add_f64 v[4:5], v[4:5], v[6:7]
	v_add_f64 v[6:7], v[26:27], v[20:21]
	;; [unrolled: 1-line block ×3, first 2 shown]
	v_add_f64 v[4:5], v[6:7], -v[20:21]
	v_cmp_le_f64_e32 vcc, 0.5, v[6:7]
	v_add_f64 v[2:3], v[16:17], v[2:3]
	v_add_f64 v[4:5], v[26:27], -v[4:5]
	s_and_b64 s[2:3], vcc, exec
	s_cselect_b32 s9, 0x3ff00000, 0
	v_addc_co_u32_e64 v16, s[2:3], 0, v34, vcc
	s_mov_b32 s2, 0x54442d18
	s_mov_b32 s3, 0x3ff921fb
	v_add_f64 v[2:3], v[2:3], v[4:5]
	v_add_f64 v[4:5], v[6:7], -s[8:9]
	s_mov_b32 s8, 0x33145c07
	s_mov_b32 s9, 0x3c91a626
	v_add_f64 v[6:7], v[4:5], v[2:3]
	v_mul_f64 v[17:18], v[6:7], s[2:3]
	v_add_f64 v[4:5], v[6:7], -v[4:5]
	v_fma_f64 v[19:20], v[6:7], s[2:3], -v[17:18]
	v_add_f64 v[2:3], v[2:3], -v[4:5]
	v_fma_f64 v[4:5], v[6:7], s[8:9], v[19:20]
	v_fma_f64 v[4:5], v[2:3], s[2:3], v[4:5]
	v_add_f64 v[2:3], v[17:18], v[4:5]
	v_add_f64 v[6:7], v[2:3], -v[17:18]
	v_add_f64 v[4:5], v[4:5], -v[6:7]
	s_cbranch_execz .LBB2_16
	s_branch .LBB2_17
.LBB2_15:
                                        ; implicit-def: $vgpr16
                                        ; implicit-def: $vgpr2_vgpr3
                                        ; implicit-def: $vgpr4_vgpr5
.LBB2_16:
	v_mov_b32_e32 v2, 0x6dc9c883
	v_mov_b32_e32 v3, 0x3fe45f30
	v_mul_f64 v[2:3], |s[6:7]|, v[2:3]
	s_mov_b32 s2, 0x54442d18
	s_mov_b32 s3, 0xbff921fb
	;; [unrolled: 1-line block ×4, first 2 shown]
	v_rndne_f64_e32 v[6:7], v[2:3]
	v_mov_b32_e32 v2, s6
	v_mov_b32_e32 v3, s7
	v_fma_f64 v[2:3], v[6:7], s[2:3], |v[2:3]|
	v_mul_f64 v[4:5], v[6:7], s[8:9]
	s_mov_b32 s2, 0x252049c0
	s_mov_b32 s3, 0xb97b839a
	v_fma_f64 v[20:21], v[6:7], s[8:9], v[2:3]
	v_add_f64 v[16:17], v[2:3], v[4:5]
	s_mov_b32 s9, 0x3c91a626
	v_add_f64 v[18:19], v[2:3], -v[16:17]
	v_add_f64 v[16:17], v[16:17], -v[20:21]
	v_add_f64 v[2:3], v[18:19], v[4:5]
	v_fma_f64 v[4:5], v[6:7], s[8:9], v[4:5]
	v_add_f64 v[2:3], v[16:17], v[2:3]
	v_add_f64 v[2:3], v[2:3], -v[4:5]
	v_fma_f64 v[4:5], v[6:7], s[2:3], v[2:3]
	v_add_f64 v[2:3], v[20:21], v[4:5]
	v_add_f64 v[16:17], v[2:3], -v[20:21]
	v_add_f64 v[4:5], v[4:5], -v[16:17]
	v_cvt_i32_f64_e32 v16, v[6:7]
.LBB2_17:
	v_mul_f64 v[6:7], v[12:13], v[12:13]
	v_mul_f64 v[19:20], v[2:3], v[2:3]
	s_mov_b32 s14, 0xb42fdfa7
	s_mov_b32 s15, 0xbe5ae600
	;; [unrolled: 1-line block ×3, first 2 shown]
	v_mov_b32_e32 v22, s15
	s_mov_b32 s19, 0x3de5e0b2
	v_mov_b32_e32 v21, s14
	v_mul_f64 v[17:18], v[6:7], 0.5
	v_fma_f64 v[23:24], v[6:7], s[18:19], v[21:22]
	v_fma_f64 v[21:22], v[19:20], s[18:19], v[21:22]
	s_mov_b32 s12, 0x9037ab78
	s_mov_b32 s13, 0x3e21eeb6
	v_mov_b32_e32 v26, s13
	s_mov_b32 s8, 0x46cc5e42
	v_mov_b32_e32 v25, s12
	v_add_f64 v[29:30], -v[17:18], 1.0
	s_mov_b32 s12, 0x796cde01
	s_mov_b32 s9, 0xbda907db
	;; [unrolled: 1-line block ×3, first 2 shown]
	v_fma_f64 v[27:28], v[6:7], s[8:9], v[25:26]
	v_fma_f64 v[21:22], v[19:20], v[21:22], s[12:13]
	s_mov_b32 s2, 0xa17f65f6
	v_fma_f64 v[23:24], v[6:7], v[23:24], s[12:13]
	v_add_f64 v[31:32], -v[29:30], 1.0
	s_mov_b32 s12, 0x19e83e5c
	s_mov_b32 s3, 0xbe927e4f
	;; [unrolled: 1-line block ×3, first 2 shown]
	v_fma_f64 v[27:28], v[6:7], v[27:28], s[2:3]
	v_fma_f64 v[25:26], v[19:20], s[8:9], v[25:26]
	;; [unrolled: 1-line block ×3, first 2 shown]
	s_mov_b32 s14, 0x19f4ec90
	v_add_f64 v[17:18], v[31:32], -v[17:18]
	v_mul_f64 v[31:32], v[19:20], 0.5
	s_mov_b32 s8, 0x11110bb3
	s_mov_b32 s15, 0x3efa01a0
	;; [unrolled: 1-line block ×3, first 2 shown]
	v_fma_f64 v[23:24], v[6:7], v[23:24], s[12:13]
	v_fma_f64 v[27:28], v[6:7], v[27:28], s[14:15]
	;; [unrolled: 1-line block ×4, first 2 shown]
	v_mul_f64 v[37:38], v[2:3], -v[19:20]
	v_mul_f64 v[39:40], v[4:5], 0.5
	v_add_f64 v[41:42], -v[31:32], 1.0
	s_mov_b32 s2, 0x16c16967
	s_mov_b32 s3, 0xbf56c16c
	v_fma_f64 v[23:24], v[6:7], v[23:24], s[8:9]
	v_mul_f64 v[33:34], v[12:13], -v[6:7]
	v_mul_f64 v[35:36], v[14:15], 0.5
	v_fma_f64 v[27:28], v[6:7], v[27:28], s[2:3]
	v_fma_f64 v[25:26], v[19:20], v[25:26], s[14:15]
	;; [unrolled: 1-line block ×3, first 2 shown]
	v_add_f64 v[39:40], -v[41:42], 1.0
	s_mov_b32 s8, 0x55555555
	s_mov_b32 s9, 0x3fa55555
	v_fma_f64 v[17:18], v[12:13], -v[14:15], v[17:18]
	v_fma_f64 v[23:24], v[33:34], v[23:24], v[35:36]
	v_mul_f64 v[35:36], v[6:7], v[6:7]
	v_fma_f64 v[27:28], v[6:7], v[27:28], s[8:9]
	v_fma_f64 v[25:26], v[19:20], v[25:26], s[2:3]
	v_add_f64 v[31:32], v[39:40], -v[31:32]
	s_bitcmp0_b32 s16, 0
	s_cselect_b64 vcc, -1, 0
	v_fma_f64 v[6:7], v[6:7], v[23:24], -v[14:15]
	v_fma_f64 v[14:15], v[35:36], v[27:28], v[17:18]
	v_fma_f64 v[17:18], v[19:20], v[21:22], -v[4:5]
	v_mul_f64 v[21:22], v[19:20], v[19:20]
	v_fma_f64 v[19:20], v[19:20], v[25:26], s[8:9]
	v_fma_f64 v[4:5], v[2:3], -v[4:5], v[31:32]
	s_mov_b32 s9, 0xbfc55555
	v_fma_f64 v[6:7], v[33:34], s[8:9], v[6:7]
	v_add_f64 v[14:15], v[29:30], v[14:15]
	v_fma_f64 v[17:18], v[37:38], s[8:9], v[17:18]
	v_fma_f64 v[4:5], v[21:22], v[19:20], v[4:5]
	v_add_f64 v[6:7], v[12:13], -v[6:7]
	v_and_b32_e32 v13, 1, v16
	v_cmp_eq_u32_e64 s[2:3], 0, v13
	v_add_f64 v[2:3], v[2:3], -v[17:18]
	v_mov_b32_e32 v12, 0x7ff80000
	v_add_f64 v[4:5], v[41:42], v[4:5]
	v_cndmask_b32_e32 v6, v14, v6, vcc
	v_xor_b32_e32 v3, 0x80000000, v3
	v_cndmask_b32_e64 v2, v2, v4, s[2:3]
	v_lshlrev_b32_e32 v4, 30, v16
	v_cndmask_b32_e64 v3, v3, v5, s[2:3]
	v_and_b32_e32 v4, 0x80000000, v4
	v_xor_b32_e32 v3, v3, v4
	v_cndmask_b32_e64 v2, 0, v2, s[0:1]
	v_cndmask_b32_e64 v3, v12, v3, s[0:1]
	v_mul_f64 v[2:3], v[10:11], v[2:3]
	s_lshl_b32 s2, s16, 30
	s_xor_b32 s2, s2, s7
	v_cndmask_b32_e32 v4, v15, v7, vcc
	s_and_b32 s2, s2, 0x80000000
	v_xor_b32_e32 v5, s2, v4
	v_cndmask_b32_e64 v4, 0, v6, s[0:1]
	v_cndmask_b32_e64 v5, v12, v5, s[0:1]
	v_fma_f64 v[2:3], v[8:9], v[4:5], v[2:3]
	s_waitcnt lgkmcnt(0)
	v_mov_b32_e32 v4, s5
	v_add_co_u32_e32 v0, vcc, s4, v0
	v_addc_co_u32_e32 v1, vcc, v4, v1, vcc
	v_add_f64 v[2:3], s[10:11], v[2:3]
	global_store_dwordx2 v[0:1], v[2:3], off
.LBB2_18:
	s_endpgm
	.section	.rodata,"a",@progbits
	.p2align	6, 0x0
	.amdhsa_kernel _Z19rot_detector_kernelPdS_PKdS1_dddi
		.amdhsa_group_segment_fixed_size 0
		.amdhsa_private_segment_fixed_size 0
		.amdhsa_kernarg_size 320
		.amdhsa_user_sgpr_count 6
		.amdhsa_user_sgpr_private_segment_buffer 1
		.amdhsa_user_sgpr_dispatch_ptr 0
		.amdhsa_user_sgpr_queue_ptr 0
		.amdhsa_user_sgpr_kernarg_segment_ptr 1
		.amdhsa_user_sgpr_dispatch_id 0
		.amdhsa_user_sgpr_flat_scratch_init 0
		.amdhsa_user_sgpr_private_segment_size 0
		.amdhsa_uses_dynamic_stack 0
		.amdhsa_system_sgpr_private_segment_wavefront_offset 0
		.amdhsa_system_sgpr_workgroup_id_x 1
		.amdhsa_system_sgpr_workgroup_id_y 0
		.amdhsa_system_sgpr_workgroup_id_z 0
		.amdhsa_system_sgpr_workgroup_info 0
		.amdhsa_system_vgpr_workitem_id 0
		.amdhsa_next_free_vgpr 45
		.amdhsa_next_free_sgpr 38
		.amdhsa_reserve_vcc 1
		.amdhsa_reserve_flat_scratch 0
		.amdhsa_float_round_mode_32 0
		.amdhsa_float_round_mode_16_64 0
		.amdhsa_float_denorm_mode_32 3
		.amdhsa_float_denorm_mode_16_64 3
		.amdhsa_dx10_clamp 1
		.amdhsa_ieee_mode 1
		.amdhsa_fp16_overflow 0
		.amdhsa_exception_fp_ieee_invalid_op 0
		.amdhsa_exception_fp_denorm_src 0
		.amdhsa_exception_fp_ieee_div_zero 0
		.amdhsa_exception_fp_ieee_overflow 0
		.amdhsa_exception_fp_ieee_underflow 0
		.amdhsa_exception_fp_ieee_inexact 0
		.amdhsa_exception_int_div_zero 0
	.end_amdhsa_kernel
	.text
.Lfunc_end2:
	.size	_Z19rot_detector_kernelPdS_PKdS1_dddi, .Lfunc_end2-_Z19rot_detector_kernelPdS_PKdS1_dddi
                                        ; -- End function
	.set _Z19rot_detector_kernelPdS_PKdS1_dddi.num_vgpr, 45
	.set _Z19rot_detector_kernelPdS_PKdS1_dddi.num_agpr, 0
	.set _Z19rot_detector_kernelPdS_PKdS1_dddi.numbered_sgpr, 38
	.set _Z19rot_detector_kernelPdS_PKdS1_dddi.num_named_barrier, 0
	.set _Z19rot_detector_kernelPdS_PKdS1_dddi.private_seg_size, 0
	.set _Z19rot_detector_kernelPdS_PKdS1_dddi.uses_vcc, 1
	.set _Z19rot_detector_kernelPdS_PKdS1_dddi.uses_flat_scratch, 0
	.set _Z19rot_detector_kernelPdS_PKdS1_dddi.has_dyn_sized_stack, 0
	.set _Z19rot_detector_kernelPdS_PKdS1_dddi.has_recursion, 0
	.set _Z19rot_detector_kernelPdS_PKdS1_dddi.has_indirect_call, 0
	.section	.AMDGPU.csdata,"",@progbits
; Kernel info:
; codeLenInByte = 5092
; TotalNumSgprs: 42
; NumVgprs: 45
; ScratchSize: 0
; MemoryBound: 0
; FloatMode: 240
; IeeeMode: 1
; LDSByteSize: 0 bytes/workgroup (compile time only)
; SGPRBlocks: 5
; VGPRBlocks: 11
; NumSGPRsForWavesPerEU: 42
; NumVGPRsForWavesPerEU: 45
; Occupancy: 5
; WaveLimiterHint : 0
; COMPUTE_PGM_RSRC2:SCRATCH_EN: 0
; COMPUTE_PGM_RSRC2:USER_SGPR: 6
; COMPUTE_PGM_RSRC2:TRAP_HANDLER: 0
; COMPUTE_PGM_RSRC2:TGID_X_EN: 1
; COMPUTE_PGM_RSRC2:TGID_Y_EN: 0
; COMPUTE_PGM_RSRC2:TGID_Z_EN: 0
; COMPUTE_PGM_RSRC2:TIDIG_COMP_CNT: 0
	.text
	.protected	_Z19mapDet2Slice_kernelPdS_dddPKdS1_S1_S1_iii ; -- Begin function _Z19mapDet2Slice_kernelPdS_dddPKdS1_S1_S1_iii
	.globl	_Z19mapDet2Slice_kernelPdS_dddPKdS1_S1_S1_iii
	.p2align	8
	.type	_Z19mapDet2Slice_kernelPdS_dddPKdS1_S1_S1_iii,@function
_Z19mapDet2Slice_kernelPdS_dddPKdS1_S1_S1_iii: ; @_Z19mapDet2Slice_kernelPdS_dddPKdS1_S1_S1_iii
; %bb.0:
	s_load_dword s0, s[4:5], 0x64
	s_load_dwordx4 s[16:19], s[4:5], 0x48
	s_waitcnt lgkmcnt(0)
	s_lshr_b32 s1, s0, 16
	s_and_b32 s0, s0, 0xffff
	s_mul_i32 s6, s6, s0
	s_mul_i32 s7, s7, s1
	v_add_u32_e32 v2, s6, v0
	v_add_u32_e32 v0, s7, v1
	v_cmp_gt_i32_e32 vcc, s17, v2
	v_cmp_gt_i32_e64 s[0:1], s16, v0
	s_and_b64 s[0:1], vcc, s[0:1]
	s_and_saveexec_b64 s[2:3], s[0:1]
	s_cbranch_execz .LBB3_3
; %bb.1:
	s_load_dwordx4 s[0:3], s[4:5], 0x38
	s_load_dwordx8 s[8:15], s[4:5], 0x10
	v_ashrrev_i32_e32 v1, 31, v0
	v_mad_u64_u32 v[9:10], s[6:7], v0, s17, v[2:3]
	v_lshlrev_b64 v[3:4], 3, v[0:1]
	s_waitcnt lgkmcnt(0)
	v_mov_b32_e32 v1, s15
	v_add_co_u32_e32 v3, vcc, s14, v3
	v_addc_co_u32_e32 v4, vcc, v1, v4, vcc
	global_load_dwordx2 v[10:11], v[3:4], off
	v_ashrrev_i32_e32 v3, 31, v2
	v_lshlrev_b64 v[1:2], 3, v[2:3]
	v_mov_b32_e32 v4, s1
	v_add_co_u32_e32 v3, vcc, s0, v1
	v_addc_co_u32_e32 v4, vcc, v4, v2, vcc
	global_load_dwordx2 v[5:6], v[3:4], off
	s_ashr_i32 s19, s18, 31
	s_lshl_b64 s[0:1], s[18:19], 3
	s_add_u32 s0, s2, s0
	s_addc_u32 s1, s3, s1
	s_load_dwordx2 s[0:1], s[0:1], 0x0
	s_waitcnt vmcnt(1)
	v_add_f64 v[3:4], v[10:11], -s[8:9]
	v_mul_f64 v[12:13], s[12:13], v[10:11]
	s_waitcnt vmcnt(0) lgkmcnt(0)
	v_add_f64 v[7:8], s[0:1], -v[5:6]
	v_fma_f64 v[12:13], v[3:4], v[7:8], -v[12:13]
	v_add_f64 v[3:4], v[5:6], -s[12:13]
	v_fma_f64 v[10:11], v[10:11], v[5:6], v[12:13]
	v_div_scale_f64 v[12:13], s[0:1], v[3:4], v[3:4], v[10:11]
	s_load_dwordx2 s[0:1], s[4:5], 0x0
	v_rcp_f64_e32 v[14:15], v[12:13]
	v_fma_f64 v[16:17], -v[12:13], v[14:15], 1.0
	v_fma_f64 v[14:15], v[14:15], v[16:17], v[14:15]
	v_fma_f64 v[16:17], -v[12:13], v[14:15], 1.0
	v_fma_f64 v[14:15], v[14:15], v[16:17], v[14:15]
	v_div_scale_f64 v[16:17], vcc, v[10:11], v[3:4], v[10:11]
	v_mul_f64 v[18:19], v[16:17], v[14:15]
	v_fma_f64 v[12:13], -v[12:13], v[18:19], v[16:17]
	s_nop 1
	v_div_fmas_f64 v[12:13], v[12:13], v[14:15], v[18:19]
	v_div_fixup_f64 v[11:12], v[12:13], v[3:4], v[10:11]
	v_ashrrev_i32_e32 v10, 31, v9
	v_lshlrev_b64 v[9:10], 3, v[9:10]
	s_waitcnt lgkmcnt(0)
	v_mov_b32_e32 v13, s1
	v_add_co_u32_e32 v9, vcc, s0, v9
	v_addc_co_u32_e32 v10, vcc, v13, v10, vcc
	v_cmp_eq_u32_e32 vcc, 0, v0
	global_store_dwordx2 v[9:10], v[11:12], off
	s_and_b64 exec, exec, vcc
	s_cbranch_execz .LBB3_3
; %bb.2:
	s_load_dwordx2 s[0:1], s[4:5], 0x30
	s_waitcnt lgkmcnt(0)
	v_mov_b32_e32 v0, s1
	v_add_co_u32_e32 v9, vcc, s0, v1
	v_addc_co_u32_e32 v10, vcc, v0, v2, vcc
	global_load_dwordx2 v[9:10], v[9:10], off
	s_waitcnt vmcnt(0)
	v_add_f64 v[11:12], v[9:10], -s[10:11]
	v_mul_f64 v[13:14], s[12:13], v[9:10]
	v_fma_f64 v[7:8], v[7:8], v[11:12], -v[13:14]
	v_fma_f64 v[5:6], v[5:6], v[9:10], v[7:8]
	v_div_scale_f64 v[7:8], s[0:1], v[3:4], v[3:4], v[5:6]
	v_div_scale_f64 v[13:14], vcc, v[5:6], v[3:4], v[5:6]
	s_load_dwordx2 s[0:1], s[4:5], 0x8
	v_rcp_f64_e32 v[9:10], v[7:8]
	v_fma_f64 v[11:12], -v[7:8], v[9:10], 1.0
	v_fma_f64 v[9:10], v[9:10], v[11:12], v[9:10]
	v_fma_f64 v[11:12], -v[7:8], v[9:10], 1.0
	v_fma_f64 v[9:10], v[9:10], v[11:12], v[9:10]
	v_mul_f64 v[11:12], v[13:14], v[9:10]
	v_fma_f64 v[7:8], -v[7:8], v[11:12], v[13:14]
	v_div_fmas_f64 v[7:8], v[7:8], v[9:10], v[11:12]
	s_waitcnt lgkmcnt(0)
	v_add_co_u32_e32 v0, vcc, s0, v1
	v_div_fixup_f64 v[3:4], v[7:8], v[3:4], v[5:6]
	v_mov_b32_e32 v5, s1
	v_addc_co_u32_e32 v1, vcc, v5, v2, vcc
	global_store_dwordx2 v[0:1], v[3:4], off
.LBB3_3:
	s_endpgm
	.section	.rodata,"a",@progbits
	.p2align	6, 0x0
	.amdhsa_kernel _Z19mapDet2Slice_kernelPdS_dddPKdS1_S1_S1_iii
		.amdhsa_group_segment_fixed_size 0
		.amdhsa_private_segment_fixed_size 0
		.amdhsa_kernarg_size 344
		.amdhsa_user_sgpr_count 6
		.amdhsa_user_sgpr_private_segment_buffer 1
		.amdhsa_user_sgpr_dispatch_ptr 0
		.amdhsa_user_sgpr_queue_ptr 0
		.amdhsa_user_sgpr_kernarg_segment_ptr 1
		.amdhsa_user_sgpr_dispatch_id 0
		.amdhsa_user_sgpr_flat_scratch_init 0
		.amdhsa_user_sgpr_private_segment_size 0
		.amdhsa_uses_dynamic_stack 0
		.amdhsa_system_sgpr_private_segment_wavefront_offset 0
		.amdhsa_system_sgpr_workgroup_id_x 1
		.amdhsa_system_sgpr_workgroup_id_y 1
		.amdhsa_system_sgpr_workgroup_id_z 0
		.amdhsa_system_sgpr_workgroup_info 0
		.amdhsa_system_vgpr_workitem_id 1
		.amdhsa_next_free_vgpr 20
		.amdhsa_next_free_sgpr 20
		.amdhsa_reserve_vcc 1
		.amdhsa_reserve_flat_scratch 0
		.amdhsa_float_round_mode_32 0
		.amdhsa_float_round_mode_16_64 0
		.amdhsa_float_denorm_mode_32 3
		.amdhsa_float_denorm_mode_16_64 3
		.amdhsa_dx10_clamp 1
		.amdhsa_ieee_mode 1
		.amdhsa_fp16_overflow 0
		.amdhsa_exception_fp_ieee_invalid_op 0
		.amdhsa_exception_fp_denorm_src 0
		.amdhsa_exception_fp_ieee_div_zero 0
		.amdhsa_exception_fp_ieee_overflow 0
		.amdhsa_exception_fp_ieee_underflow 0
		.amdhsa_exception_fp_ieee_inexact 0
		.amdhsa_exception_int_div_zero 0
	.end_amdhsa_kernel
	.text
.Lfunc_end3:
	.size	_Z19mapDet2Slice_kernelPdS_dddPKdS1_S1_S1_iii, .Lfunc_end3-_Z19mapDet2Slice_kernelPdS_dddPKdS1_S1_S1_iii
                                        ; -- End function
	.set _Z19mapDet2Slice_kernelPdS_dddPKdS1_S1_S1_iii.num_vgpr, 20
	.set _Z19mapDet2Slice_kernelPdS_dddPKdS1_S1_S1_iii.num_agpr, 0
	.set _Z19mapDet2Slice_kernelPdS_dddPKdS1_S1_S1_iii.numbered_sgpr, 20
	.set _Z19mapDet2Slice_kernelPdS_dddPKdS1_S1_S1_iii.num_named_barrier, 0
	.set _Z19mapDet2Slice_kernelPdS_dddPKdS1_S1_S1_iii.private_seg_size, 0
	.set _Z19mapDet2Slice_kernelPdS_dddPKdS1_S1_S1_iii.uses_vcc, 1
	.set _Z19mapDet2Slice_kernelPdS_dddPKdS1_S1_S1_iii.uses_flat_scratch, 0
	.set _Z19mapDet2Slice_kernelPdS_dddPKdS1_S1_S1_iii.has_dyn_sized_stack, 0
	.set _Z19mapDet2Slice_kernelPdS_dddPKdS1_S1_S1_iii.has_recursion, 0
	.set _Z19mapDet2Slice_kernelPdS_dddPKdS1_S1_S1_iii.has_indirect_call, 0
	.section	.AMDGPU.csdata,"",@progbits
; Kernel info:
; codeLenInByte = 576
; TotalNumSgprs: 24
; NumVgprs: 20
; ScratchSize: 0
; MemoryBound: 0
; FloatMode: 240
; IeeeMode: 1
; LDSByteSize: 0 bytes/workgroup (compile time only)
; SGPRBlocks: 2
; VGPRBlocks: 4
; NumSGPRsForWavesPerEU: 24
; NumVGPRsForWavesPerEU: 20
; Occupancy: 10
; WaveLimiterHint : 0
; COMPUTE_PGM_RSRC2:SCRATCH_EN: 0
; COMPUTE_PGM_RSRC2:USER_SGPR: 6
; COMPUTE_PGM_RSRC2:TRAP_HANDLER: 0
; COMPUTE_PGM_RSRC2:TGID_X_EN: 1
; COMPUTE_PGM_RSRC2:TGID_Y_EN: 1
; COMPUTE_PGM_RSRC2:TGID_Z_EN: 0
; COMPUTE_PGM_RSRC2:TIDIG_COMP_CNT: 1
	.text
	.protected	_Z22img_integration_kernelPdiibiii ; -- Begin function _Z22img_integration_kernelPdiibiii
	.globl	_Z22img_integration_kernelPdiibiii
	.p2align	8
	.type	_Z22img_integration_kernelPdiibiii,@function
_Z22img_integration_kernelPdiibiii:     ; @_Z22img_integration_kernelPdiibiii
; %bb.0:
	s_load_dwordx2 s[0:1], s[4:5], 0x2c
	s_load_dwordx4 s[12:15], s[4:5], 0x8
	s_load_dwordx2 s[2:3], s[4:5], 0x18
	s_waitcnt lgkmcnt(0)
	s_lshr_b32 s9, s0, 16
	s_and_b32 s10, s0, 0xffff
	s_mul_i32 s6, s6, s10
	s_mul_i32 s7, s7, s9
	s_and_b32 s1, s1, 0xffff
	v_add_u32_e32 v6, s6, v0
	v_add_u32_e32 v4, s7, v1
	;; [unrolled: 1-line block ×4, first 2 shown]
	s_mul_i32 s8, s8, s1
	v_add_u32_e32 v5, s8, v2
	v_cmp_gt_i32_e32 vcc, s13, v1
	v_cmp_gt_i32_e64 s[0:1], s12, v0
	s_and_b64 s[0:1], vcc, s[0:1]
	v_cmp_gt_i32_e32 vcc, s3, v5
	s_and_b64 s[0:1], vcc, s[0:1]
	s_and_saveexec_b64 s[6:7], s[0:1]
	s_cbranch_execz .LBB4_14
; %bb.1:
	s_load_dwordx2 s[0:1], s[4:5], 0x0
	s_bitcmp1_b32 s14, 0
	s_cselect_b64 s[6:7], -1, 0
	s_mov_b64 s[4:5], -1
	s_and_b64 vcc, exec, s[6:7]
	s_cbranch_vccnz .LBB4_8
; %bb.2:
	s_cmp_eq_u32 s10, 0
	s_cbranch_scc1 .LBB4_7
; %bb.3:
	v_mad_u64_u32 v[2:3], s[4:5], v5, s12, v[0:1]
	s_waitcnt lgkmcnt(0)
	v_mov_b32_e32 v7, s1
	s_mov_b32 s3, 1
	v_mul_lo_u32 v2, v2, s13
	v_add_u32_e32 v8, s15, v2
	v_add_u32_e32 v2, v2, v1
	v_ashrrev_i32_e32 v3, 31, v2
	v_lshlrev_b64 v[2:3], 3, v[2:3]
	v_add_co_u32_e32 v2, vcc, s0, v2
	v_addc_co_u32_e32 v3, vcc, v7, v3, vcc
	s_branch .LBB4_5
.LBB4_4:                                ;   in Loop: Header=BB4_5 Depth=1
	s_or_b64 exec, exec, s[4:5]
	s_lshl_b32 s3, s3, 1
	s_cmp_le_u32 s3, s10
	s_cbranch_scc0 .LBB4_7
.LBB4_5:                                ; =>This Inner Loop Header: Depth=1
	v_subrev_u32_e32 v9, s3, v6
	v_cmp_lt_i32_e32 vcc, -1, v9
	s_and_saveexec_b64 s[4:5], vcc
	s_cbranch_execz .LBB4_4
; %bb.6:                                ;   in Loop: Header=BB4_5 Depth=1
	v_add_u32_e32 v9, v8, v9
	v_ashrrev_i32_e32 v10, 31, v9
	v_lshlrev_b64 v[9:10], 3, v[9:10]
	v_add_co_u32_e32 v9, vcc, s0, v9
	v_addc_co_u32_e32 v10, vcc, v7, v10, vcc
	global_load_dwordx2 v[11:12], v[9:10], off
	global_load_dwordx2 v[13:14], v[2:3], off
	s_waitcnt vmcnt(0)
	v_add_f64 v[9:10], v[11:12], v[13:14]
	global_store_dwordx2 v[2:3], v[9:10], off
	s_branch .LBB4_4
.LBB4_7:
	s_mov_b64 s[4:5], 0
.LBB4_8:
	s_andn2_b64 vcc, exec, s[4:5]
	s_cbranch_vccnz .LBB4_14
; %bb.9:
	s_cmp_eq_u32 s9, 0
	s_cbranch_scc1 .LBB4_14
; %bb.10:
	v_mul_lo_u32 v2, s13, v5
	v_mad_u64_u32 v[1:2], s[4:5], v2, s12, v[1:2]
	v_mad_u64_u32 v[2:3], s[4:5], v0, s13, v[1:2]
	s_waitcnt lgkmcnt(0)
	v_mov_b32_e32 v0, s1
	s_mov_b32 s1, 1
	v_ashrrev_i32_e32 v3, 31, v2
	v_lshlrev_b64 v[2:3], 3, v[2:3]
	v_add_co_u32_e32 v2, vcc, s0, v2
	v_addc_co_u32_e32 v3, vcc, v0, v3, vcc
	s_branch .LBB4_12
.LBB4_11:                               ;   in Loop: Header=BB4_12 Depth=1
	s_or_b64 exec, exec, s[4:5]
	s_lshl_b32 s1, s1, 1
	s_cmp_gt_u32 s1, s9
	s_cbranch_scc1 .LBB4_14
.LBB4_12:                               ; =>This Inner Loop Header: Depth=1
	v_subrev_u32_e32 v5, s1, v4
	v_cmp_lt_i32_e32 vcc, -1, v5
	s_and_saveexec_b64 s[4:5], vcc
	s_cbranch_execz .LBB4_11
; %bb.13:                               ;   in Loop: Header=BB4_12 Depth=1
	v_add_u32_e32 v5, s2, v5
	v_mad_u64_u32 v[5:6], s[6:7], v5, s13, v[1:2]
	v_ashrrev_i32_e32 v6, 31, v5
	v_lshlrev_b64 v[5:6], 3, v[5:6]
	v_add_co_u32_e32 v5, vcc, s0, v5
	v_addc_co_u32_e32 v6, vcc, v0, v6, vcc
	global_load_dwordx2 v[7:8], v[5:6], off
	global_load_dwordx2 v[9:10], v[2:3], off
	s_waitcnt vmcnt(0)
	v_add_f64 v[5:6], v[7:8], v[9:10]
	global_store_dwordx2 v[2:3], v[5:6], off
	s_branch .LBB4_11
.LBB4_14:
	s_endpgm
	.section	.rodata,"a",@progbits
	.p2align	6, 0x0
	.amdhsa_kernel _Z22img_integration_kernelPdiibiii
		.amdhsa_group_segment_fixed_size 0
		.amdhsa_private_segment_fixed_size 0
		.amdhsa_kernarg_size 288
		.amdhsa_user_sgpr_count 6
		.amdhsa_user_sgpr_private_segment_buffer 1
		.amdhsa_user_sgpr_dispatch_ptr 0
		.amdhsa_user_sgpr_queue_ptr 0
		.amdhsa_user_sgpr_kernarg_segment_ptr 1
		.amdhsa_user_sgpr_dispatch_id 0
		.amdhsa_user_sgpr_flat_scratch_init 0
		.amdhsa_user_sgpr_private_segment_size 0
		.amdhsa_uses_dynamic_stack 0
		.amdhsa_system_sgpr_private_segment_wavefront_offset 0
		.amdhsa_system_sgpr_workgroup_id_x 1
		.amdhsa_system_sgpr_workgroup_id_y 1
		.amdhsa_system_sgpr_workgroup_id_z 1
		.amdhsa_system_sgpr_workgroup_info 0
		.amdhsa_system_vgpr_workitem_id 2
		.amdhsa_next_free_vgpr 15
		.amdhsa_next_free_sgpr 16
		.amdhsa_reserve_vcc 1
		.amdhsa_reserve_flat_scratch 0
		.amdhsa_float_round_mode_32 0
		.amdhsa_float_round_mode_16_64 0
		.amdhsa_float_denorm_mode_32 3
		.amdhsa_float_denorm_mode_16_64 3
		.amdhsa_dx10_clamp 1
		.amdhsa_ieee_mode 1
		.amdhsa_fp16_overflow 0
		.amdhsa_exception_fp_ieee_invalid_op 0
		.amdhsa_exception_fp_denorm_src 0
		.amdhsa_exception_fp_ieee_div_zero 0
		.amdhsa_exception_fp_ieee_overflow 0
		.amdhsa_exception_fp_ieee_underflow 0
		.amdhsa_exception_fp_ieee_inexact 0
		.amdhsa_exception_int_div_zero 0
	.end_amdhsa_kernel
	.text
.Lfunc_end4:
	.size	_Z22img_integration_kernelPdiibiii, .Lfunc_end4-_Z22img_integration_kernelPdiibiii
                                        ; -- End function
	.set _Z22img_integration_kernelPdiibiii.num_vgpr, 15
	.set _Z22img_integration_kernelPdiibiii.num_agpr, 0
	.set _Z22img_integration_kernelPdiibiii.numbered_sgpr, 16
	.set _Z22img_integration_kernelPdiibiii.num_named_barrier, 0
	.set _Z22img_integration_kernelPdiibiii.private_seg_size, 0
	.set _Z22img_integration_kernelPdiibiii.uses_vcc, 1
	.set _Z22img_integration_kernelPdiibiii.uses_flat_scratch, 0
	.set _Z22img_integration_kernelPdiibiii.has_dyn_sized_stack, 0
	.set _Z22img_integration_kernelPdiibiii.has_recursion, 0
	.set _Z22img_integration_kernelPdiibiii.has_indirect_call, 0
	.section	.AMDGPU.csdata,"",@progbits
; Kernel info:
; codeLenInByte = 492
; TotalNumSgprs: 20
; NumVgprs: 15
; ScratchSize: 0
; MemoryBound: 0
; FloatMode: 240
; IeeeMode: 1
; LDSByteSize: 0 bytes/workgroup (compile time only)
; SGPRBlocks: 2
; VGPRBlocks: 3
; NumSGPRsForWavesPerEU: 20
; NumVGPRsForWavesPerEU: 15
; Occupancy: 10
; WaveLimiterHint : 0
; COMPUTE_PGM_RSRC2:SCRATCH_EN: 0
; COMPUTE_PGM_RSRC2:USER_SGPR: 6
; COMPUTE_PGM_RSRC2:TRAP_HANDLER: 0
; COMPUTE_PGM_RSRC2:TGID_X_EN: 1
; COMPUTE_PGM_RSRC2:TGID_Y_EN: 1
; COMPUTE_PGM_RSRC2:TGID_Z_EN: 1
; COMPUTE_PGM_RSRC2:TIDIG_COMP_CNT: 2
	.text
	.protected	_Z29bilinear_interpolation_kernelPdPKdS1_S1_S1_S1_iiiiiii ; -- Begin function _Z29bilinear_interpolation_kernelPdPKdS1_S1_S1_S1_iiiiiii
	.globl	_Z29bilinear_interpolation_kernelPdPKdS1_S1_S1_S1_iiiiiii
	.p2align	8
	.type	_Z29bilinear_interpolation_kernelPdPKdS1_S1_S1_S1_iiiiiii,@function
_Z29bilinear_interpolation_kernelPdPKdS1_S1_S1_S1_iiiiiii: ; @_Z29bilinear_interpolation_kernelPdPKdS1_S1_S1_S1_iiiiiii
; %bb.0:
	s_load_dword s0, s[4:5], 0x5c
	s_load_dwordx4 s[20:23], s[4:5], 0x30
	s_waitcnt lgkmcnt(0)
	s_lshr_b32 s1, s0, 16
	s_and_b32 s0, s0, 0xffff
	s_mul_i32 s6, s6, s0
	s_mul_i32 s7, s7, s1
	v_add_u32_e32 v0, s6, v0
	v_add_u32_e32 v2, s7, v1
	v_cmp_gt_i32_e32 vcc, s21, v0
	v_cmp_gt_i32_e64 s[0:1], s20, v2
	s_and_b64 s[0:1], vcc, s[0:1]
	s_and_saveexec_b64 s[2:3], s[0:1]
	s_cbranch_execz .LBB5_14
; %bb.1:
	s_load_dwordx8 s[12:19], s[4:5], 0x8
	v_ashrrev_i32_e32 v3, 31, v2
	v_lshlrev_b64 v[3:4], 3, v[2:3]
	s_load_dwordx2 s[6:7], s[4:5], 0x28
	s_waitcnt lgkmcnt(0)
	v_mov_b32_e32 v1, s15
	v_add_co_u32_e32 v3, vcc, s14, v3
	v_addc_co_u32_e32 v4, vcc, v1, v4, vcc
	global_load_dwordx2 v[3:4], v[3:4], off
	v_ashrrev_i32_e32 v1, 31, v0
	v_lshlrev_b64 v[5:6], 3, v[0:1]
	v_mov_b32_e32 v1, s17
	v_add_co_u32_e32 v5, vcc, s16, v5
	v_addc_co_u32_e32 v6, vcc, v1, v6, vcc
	global_load_dwordx2 v[5:6], v[5:6], off
	s_load_dwordx2 s[2:3], s[18:19], 0x0
	s_nop 0
	s_load_dwordx4 s[16:19], s[4:5], 0x40
	s_load_dwordx2 s[8:9], s[6:7], 0x0
	s_waitcnt lgkmcnt(0)
	s_mul_i32 s14, s18, s22
	s_waitcnt vmcnt(1)
	v_div_scale_f64 v[7:8], s[0:1], s[2:3], s[2:3], v[3:4]
	s_waitcnt vmcnt(0)
	v_div_scale_f64 v[9:10], s[0:1], s[2:3], s[2:3], v[5:6]
	v_rcp_f64_e32 v[11:12], v[7:8]
	v_rcp_f64_e32 v[13:14], v[9:10]
	v_fma_f64 v[15:16], -v[7:8], v[11:12], 1.0
	v_fma_f64 v[17:18], -v[9:10], v[13:14], 1.0
	v_fma_f64 v[11:12], v[11:12], v[15:16], v[11:12]
	v_fma_f64 v[13:14], v[13:14], v[17:18], v[13:14]
	v_fma_f64 v[15:16], -v[7:8], v[11:12], 1.0
	v_div_scale_f64 v[17:18], vcc, v[3:4], s[2:3], v[3:4]
	v_fma_f64 v[11:12], v[11:12], v[15:16], v[11:12]
	v_fma_f64 v[15:16], -v[9:10], v[13:14], 1.0
	v_fma_f64 v[13:14], v[13:14], v[15:16], v[13:14]
	v_mul_f64 v[15:16], v[17:18], v[11:12]
	v_fma_f64 v[7:8], -v[7:8], v[15:16], v[17:18]
	v_div_scale_f64 v[17:18], s[0:1], v[5:6], s[2:3], v[5:6]
	v_div_fmas_f64 v[7:8], v[7:8], v[11:12], v[15:16]
	v_mov_b32_e32 v16, s9
	v_mov_b32_e32 v15, s8
	s_mov_b64 vcc, s[0:1]
	v_mul_f64 v[11:12], v[17:18], v[13:14]
	v_div_fixup_f64 v[3:4], v[7:8], s[2:3], v[3:4]
	v_fma_f64 v[9:10], -v[9:10], v[11:12], v[17:18]
	v_div_scale_f64 v[17:18], s[6:7], s[2:3], s[2:3], v[15:16]
	v_div_fmas_f64 v[9:10], v[9:10], v[13:14], v[11:12]
	v_rcp_f64_e32 v[11:12], v[17:18]
	v_div_fixup_f64 v[7:8], v[9:10], s[2:3], v[5:6]
	v_fma_f64 v[13:14], -v[17:18], v[11:12], 1.0
	v_fma_f64 v[11:12], v[11:12], v[13:14], v[11:12]
	v_fma_f64 v[13:14], -v[17:18], v[11:12], 1.0
	v_fma_f64 v[11:12], v[11:12], v[13:14], v[11:12]
	v_mov_b32_e32 v14, s3
	v_mov_b32_e32 v13, s2
	v_div_scale_f64 v[13:14], vcc, s[8:9], v[13:14], s[8:9]
	v_mul_f64 v[19:20], v[13:14], v[11:12]
	v_fma_f64 v[13:14], -v[17:18], v[19:20], v[13:14]
	s_nop 1
	v_div_fmas_f64 v[11:12], v[13:14], v[11:12], v[19:20]
	v_cvt_f64_i32_e32 v[13:14], s17
	v_div_fixup_f64 v[9:10], v[11:12], s[2:3], v[15:16]
	v_cvt_f64_i32_e32 v[11:12], s16
	v_add_f64 v[5:6], v[11:12], -v[3:4]
	v_add_f64 v[3:4], v[7:8], -v[9:10]
	v_floor_f64_e32 v[7:8], v[5:6]
	v_cmp_le_f64_e32 vcc, 0, v[5:6]
	v_floor_f64_e32 v[9:10], v[3:4]
	v_cvt_i32_f64_e32 v15, v[7:8]
	v_mov_b32_e32 v7, 0
	v_mov_b32_e32 v8, 0
	v_cvt_i32_f64_e32 v1, v[9:10]
	v_mov_b32_e32 v9, 0
	v_mov_b32_e32 v10, 0
	s_and_saveexec_b64 s[8:9], vcc
	s_cbranch_execz .LBB5_5
; %bb.2:
	v_cmp_le_f64_e64 s[0:1], v[5:6], v[11:12]
	v_cmp_le_f64_e64 s[2:3], v[3:4], v[13:14]
	;; [unrolled: 1-line block ×3, first 2 shown]
	v_mov_b32_e32 v9, 0
	v_mov_b32_e32 v10, 0
	s_and_b64 s[0:1], s[0:1], s[2:3]
	s_and_b64 s[0:1], s[0:1], s[6:7]
	s_and_saveexec_b64 s[2:3], s[0:1]
	s_cbranch_execz .LBB5_4
; %bb.3:
	v_add_u32_e32 v9, s14, v15
	v_mad_u64_u32 v[9:10], s[0:1], v9, s23, v[1:2]
	v_mov_b32_e32 v16, s13
	v_ashrrev_i32_e32 v10, 31, v9
	v_lshlrev_b64 v[9:10], 3, v[9:10]
	v_add_co_u32_e64 v9, s[0:1], s12, v9
	v_addc_co_u32_e64 v10, s[0:1], v16, v10, s[0:1]
	global_load_dwordx2 v[9:10], v[9:10], off
.LBB5_4:
	s_or_b64 exec, exec, s[2:3]
.LBB5_5:
	s_or_b64 exec, exec, s[8:9]
	v_add_u32_e32 v16, 1, v15
	v_cmp_lt_i32_e64 s[0:1], -1, v15
	s_and_saveexec_b64 s[10:11], s[0:1]
	s_cbranch_execz .LBB5_9
; %bb.6:
	v_cmp_le_f64_e64 s[2:3], 0, v[3:4]
	v_cmp_le_f64_e64 s[6:7], v[3:4], v[13:14]
	v_cmp_gt_i32_e64 s[8:9], s16, v15
	v_mov_b32_e32 v7, 0
	v_mov_b32_e32 v8, 0
	s_and_b64 s[2:3], s[8:9], s[2:3]
	s_and_b64 s[2:3], s[6:7], s[2:3]
	s_and_saveexec_b64 s[6:7], s[2:3]
	s_cbranch_execz .LBB5_8
; %bb.7:
	v_add_u32_e32 v7, s14, v16
	v_mad_u64_u32 v[7:8], s[2:3], v7, s23, v[1:2]
	v_mov_b32_e32 v13, s13
	v_ashrrev_i32_e32 v8, 31, v7
	v_lshlrev_b64 v[7:8], 3, v[7:8]
	v_add_co_u32_e64 v7, s[2:3], s12, v7
	v_addc_co_u32_e64 v8, s[2:3], v13, v8, s[2:3]
	global_load_dwordx2 v[7:8], v[7:8], off
.LBB5_8:
	s_or_b64 exec, exec, s[6:7]
.LBB5_9:
	s_or_b64 exec, exec, s[10:11]
	v_cmp_le_f64_e64 s[2:3], v[5:6], v[11:12]
	s_load_dwordx2 s[8:9], s[4:5], 0x0
	v_cmp_lt_i32_e64 s[4:5], -1, v1
	v_cmp_gt_i32_e64 s[6:7], s17, v1
	v_mov_b32_e32 v11, 0
	s_and_b64 s[4:5], s[4:5], s[6:7]
	v_mov_b32_e32 v13, 0
	v_mov_b32_e32 v12, 0
	s_and_b64 s[2:3], vcc, s[2:3]
	v_mov_b32_e32 v14, 0
	s_and_b64 s[6:7], s[2:3], s[4:5]
	s_and_saveexec_b64 s[2:3], s[6:7]
	s_cbranch_execz .LBB5_11
; %bb.10:
	v_add_u32_e32 v13, s14, v15
	v_mul_lo_u32 v13, v13, s23
	v_mov_b32_e32 v17, s13
	v_add3_u32 v13, v1, v13, 1
	v_ashrrev_i32_e32 v14, 31, v13
	v_lshlrev_b64 v[13:14], 3, v[13:14]
	v_add_co_u32_e32 v13, vcc, s12, v13
	v_addc_co_u32_e32 v14, vcc, v17, v14, vcc
	global_load_dwordx2 v[13:14], v[13:14], off
.LBB5_11:
	s_or_b64 exec, exec, s[2:3]
	v_cmp_gt_i32_e32 vcc, s16, v15
	s_and_b64 s[0:1], s[0:1], vcc
	s_and_b64 s[2:3], s[0:1], s[4:5]
	s_and_saveexec_b64 s[0:1], s[2:3]
	s_cbranch_execz .LBB5_13
; %bb.12:
	v_add_u32_e32 v11, s14, v16
	v_mul_lo_u32 v11, v11, s23
	v_mov_b32_e32 v16, s13
	v_add3_u32 v11, v1, v11, 1
	v_ashrrev_i32_e32 v12, 31, v11
	v_lshlrev_b64 v[11:12], 3, v[11:12]
	v_add_co_u32_e32 v11, vcc, s12, v11
	v_addc_co_u32_e32 v12, vcc, v16, v12, vcc
	global_load_dwordx2 v[11:12], v[11:12], off
.LBB5_13:
	s_or_b64 exec, exec, s[0:1]
	v_cvt_f64_i32_e32 v[15:16], v15
	v_add_f64 v[5:6], v[5:6], -v[15:16]
	v_cvt_f64_i32_e32 v[15:16], v1
	v_mad_u64_u32 v[0:1], s[0:1], v2, s21, v[0:1]
	v_add_f64 v[3:4], v[3:4], -v[15:16]
	v_ashrrev_i32_e32 v1, 31, v0
	v_lshlrev_b64 v[0:1], 3, v[0:1]
	s_waitcnt vmcnt(0)
	v_fma_f64 v[9:10], -v[5:6], v[9:10], v[9:10]
	v_fma_f64 v[13:14], -v[5:6], v[13:14], v[13:14]
	s_waitcnt lgkmcnt(0)
	v_add_co_u32_e32 v0, vcc, s8, v0
	v_fma_f64 v[7:8], v[5:6], v[7:8], v[9:10]
	v_fma_f64 v[5:6], v[5:6], v[11:12], v[13:14]
	v_fma_f64 v[7:8], -v[3:4], v[7:8], v[7:8]
	v_fma_f64 v[2:3], v[3:4], v[5:6], v[7:8]
	v_mov_b32_e32 v4, s9
	v_addc_co_u32_e32 v1, vcc, v4, v1, vcc
	global_store_dwordx2 v[0:1], v[2:3], off
.LBB5_14:
	s_endpgm
	.section	.rodata,"a",@progbits
	.p2align	6, 0x0
	.amdhsa_kernel _Z29bilinear_interpolation_kernelPdPKdS1_S1_S1_S1_iiiiiii
		.amdhsa_group_segment_fixed_size 0
		.amdhsa_private_segment_fixed_size 0
		.amdhsa_kernarg_size 336
		.amdhsa_user_sgpr_count 6
		.amdhsa_user_sgpr_private_segment_buffer 1
		.amdhsa_user_sgpr_dispatch_ptr 0
		.amdhsa_user_sgpr_queue_ptr 0
		.amdhsa_user_sgpr_kernarg_segment_ptr 1
		.amdhsa_user_sgpr_dispatch_id 0
		.amdhsa_user_sgpr_flat_scratch_init 0
		.amdhsa_user_sgpr_private_segment_size 0
		.amdhsa_uses_dynamic_stack 0
		.amdhsa_system_sgpr_private_segment_wavefront_offset 0
		.amdhsa_system_sgpr_workgroup_id_x 1
		.amdhsa_system_sgpr_workgroup_id_y 1
		.amdhsa_system_sgpr_workgroup_id_z 0
		.amdhsa_system_sgpr_workgroup_info 0
		.amdhsa_system_vgpr_workitem_id 1
		.amdhsa_next_free_vgpr 21
		.amdhsa_next_free_sgpr 24
		.amdhsa_reserve_vcc 1
		.amdhsa_reserve_flat_scratch 0
		.amdhsa_float_round_mode_32 0
		.amdhsa_float_round_mode_16_64 0
		.amdhsa_float_denorm_mode_32 3
		.amdhsa_float_denorm_mode_16_64 3
		.amdhsa_dx10_clamp 1
		.amdhsa_ieee_mode 1
		.amdhsa_fp16_overflow 0
		.amdhsa_exception_fp_ieee_invalid_op 0
		.amdhsa_exception_fp_denorm_src 0
		.amdhsa_exception_fp_ieee_div_zero 0
		.amdhsa_exception_fp_ieee_overflow 0
		.amdhsa_exception_fp_ieee_underflow 0
		.amdhsa_exception_fp_ieee_inexact 0
		.amdhsa_exception_int_div_zero 0
	.end_amdhsa_kernel
	.text
.Lfunc_end5:
	.size	_Z29bilinear_interpolation_kernelPdPKdS1_S1_S1_S1_iiiiiii, .Lfunc_end5-_Z29bilinear_interpolation_kernelPdPKdS1_S1_S1_S1_iiiiiii
                                        ; -- End function
	.set _Z29bilinear_interpolation_kernelPdPKdS1_S1_S1_S1_iiiiiii.num_vgpr, 21
	.set _Z29bilinear_interpolation_kernelPdPKdS1_S1_S1_S1_iiiiiii.num_agpr, 0
	.set _Z29bilinear_interpolation_kernelPdPKdS1_S1_S1_S1_iiiiiii.numbered_sgpr, 24
	.set _Z29bilinear_interpolation_kernelPdPKdS1_S1_S1_S1_iiiiiii.num_named_barrier, 0
	.set _Z29bilinear_interpolation_kernelPdPKdS1_S1_S1_S1_iiiiiii.private_seg_size, 0
	.set _Z29bilinear_interpolation_kernelPdPKdS1_S1_S1_S1_iiiiiii.uses_vcc, 1
	.set _Z29bilinear_interpolation_kernelPdPKdS1_S1_S1_S1_iiiiiii.uses_flat_scratch, 0
	.set _Z29bilinear_interpolation_kernelPdPKdS1_S1_S1_S1_iiiiiii.has_dyn_sized_stack, 0
	.set _Z29bilinear_interpolation_kernelPdPKdS1_S1_S1_S1_iiiiiii.has_recursion, 0
	.set _Z29bilinear_interpolation_kernelPdPKdS1_S1_S1_S1_iiiiiii.has_indirect_call, 0
	.section	.AMDGPU.csdata,"",@progbits
; Kernel info:
; codeLenInByte = 1104
; TotalNumSgprs: 28
; NumVgprs: 21
; ScratchSize: 0
; MemoryBound: 0
; FloatMode: 240
; IeeeMode: 1
; LDSByteSize: 0 bytes/workgroup (compile time only)
; SGPRBlocks: 3
; VGPRBlocks: 5
; NumSGPRsForWavesPerEU: 28
; NumVGPRsForWavesPerEU: 21
; Occupancy: 10
; WaveLimiterHint : 0
; COMPUTE_PGM_RSRC2:SCRATCH_EN: 0
; COMPUTE_PGM_RSRC2:USER_SGPR: 6
; COMPUTE_PGM_RSRC2:TRAP_HANDLER: 0
; COMPUTE_PGM_RSRC2:TGID_X_EN: 1
; COMPUTE_PGM_RSRC2:TGID_Y_EN: 1
; COMPUTE_PGM_RSRC2:TGID_Z_EN: 0
; COMPUTE_PGM_RSRC2:TIDIG_COMP_CNT: 1
	.text
	.protected	_Z22differentiation_kernelPdPKddddS1_S1_S1_iiiidddddi ; -- Begin function _Z22differentiation_kernelPdPKddddS1_S1_S1_iiiidddddi
	.globl	_Z22differentiation_kernelPdPKddddS1_S1_S1_iiiidddddi
	.p2align	8
	.type	_Z22differentiation_kernelPdPKddddS1_S1_S1_iiiidddddi,@function
_Z22differentiation_kernelPdPKddddS1_S1_S1_iiiidddddi: ; @_Z22differentiation_kernelPdPKddddS1_S1_S1_iiiidddddi
; %bb.0:
	s_load_dword s0, s[4:5], 0x8c
	s_load_dwordx2 s[24:25], s[4:5], 0x40
	s_waitcnt lgkmcnt(0)
	s_lshr_b32 s1, s0, 16
	s_and_b32 s0, s0, 0xffff
	s_mul_i32 s6, s6, s0
	s_mul_i32 s7, s7, s1
	v_add_u32_e32 v8, s6, v0
	v_add_u32_e32 v10, s7, v1
	v_cmp_gt_i32_e32 vcc, s25, v8
	v_cmp_gt_i32_e64 s[0:1], s24, v10
	s_and_b64 s[0:1], vcc, s[0:1]
	s_and_saveexec_b64 s[2:3], s[0:1]
	s_cbranch_execz .LBB6_10
; %bb.1:
	s_load_dword s28, s[4:5], 0x4c
	s_load_dwordx4 s[0:3], s[4:5], 0x30
	s_load_dwordx2 s[30:31], s[4:5], 0x8
	s_waitcnt lgkmcnt(0)
	v_mad_u64_u32 v[0:1], s[6:7], v10, s28, v[8:9]
	v_ashrrev_i32_e32 v9, 31, v8
	v_lshlrev_b64 v[1:2], 3, v[8:9]
	v_mov_b32_e32 v3, s1
	v_add_co_u32_e32 v1, vcc, s0, v1
	v_addc_co_u32_e32 v2, vcc, v3, v2, vcc
	global_load_dwordx2 v[1:2], v[1:2], off
	s_load_dword s6, s[4:5], 0x78
	s_load_dwordx8 s[8:15], s[4:5], 0x50
	s_load_dwordx2 s[26:27], s[4:5], 0x70
	v_mov_b32_e32 v9, s31
	s_waitcnt lgkmcnt(0)
	s_ashr_i32 s7, s6, 31
	s_lshl_b64 s[0:1], s[6:7], 3
	s_add_u32 s0, s2, s0
	s_addc_u32 s1, s3, s1
	s_load_dwordx2 s[2:3], s[0:1], 0x0
	s_load_dwordx8 s[16:23], s[4:5], 0x10
	s_waitcnt lgkmcnt(0)
	v_mov_b32_e32 v4, s3
	v_mov_b32_e32 v3, s2
	v_add_f64 v[17:18], s[20:21], -v[3:4]
	s_mov_b32 s2, 0x8427b883
	s_mov_b32 s3, 0x3fae1bb4
	v_mov_b32_e32 v7, s23
	s_mov_b32 s20, 0x57b87036
	s_mov_b32 s21, 0x3fb3b136
	s_waitcnt vmcnt(0)
	v_fma_f64 v[1:2], s[14:15], 0.5, v[1:2]
	v_add_f64 v[1:2], v[1:2], -s[18:19]
	s_mov_b32 s18, 0x8b207f05
	s_mov_b32 s19, 0xbfb110e4
	v_div_scale_f64 v[3:4], s[0:1], v[17:18], v[17:18], v[1:2]
	v_rcp_f64_e32 v[5:6], v[3:4]
	v_fma_f64 v[11:12], -v[3:4], v[5:6], 1.0
	v_fma_f64 v[5:6], v[5:6], v[11:12], v[5:6]
	v_div_scale_f64 v[11:12], vcc, v[1:2], v[17:18], v[1:2]
	v_fma_f64 v[13:14], -v[3:4], v[5:6], 1.0
	v_fma_f64 v[5:6], v[5:6], v[13:14], v[5:6]
	v_mul_f64 v[13:14], v[11:12], v[5:6]
	v_fma_f64 v[3:4], -v[3:4], v[13:14], v[11:12]
	v_div_fmas_f64 v[3:4], v[3:4], v[5:6], v[13:14]
	v_div_fixup_f64 v[1:2], v[3:4], v[17:18], v[1:2]
	v_and_b32_e32 v4, 0x7fffffff, v2
	v_mov_b32_e32 v3, v1
	v_div_scale_f64 v[5:6], s[0:1], v[3:4], v[3:4], 1.0
	s_mov_b32 s0, 0xb5e68a13
	s_mov_b32 s1, 0x3eeba404
	v_rcp_f64_e32 v[11:12], v[5:6]
	v_fma_f64 v[13:14], -v[5:6], v[11:12], 1.0
	v_fma_f64 v[11:12], v[11:12], v[13:14], v[11:12]
	v_div_scale_f64 v[13:14], vcc, 1.0, v[3:4], 1.0
	v_fma_f64 v[15:16], -v[5:6], v[11:12], 1.0
	v_fma_f64 v[11:12], v[11:12], v[15:16], v[11:12]
	v_mul_f64 v[15:16], v[13:14], v[11:12]
	v_fma_f64 v[5:6], -v[5:6], v[15:16], v[13:14]
	v_div_fmas_f64 v[5:6], v[5:6], v[11:12], v[15:16]
	v_cmp_gt_f64_e64 vcc, |v[1:2]|, 1.0
	v_ashrrev_i32_e32 v11, 31, v10
	v_div_fixup_f64 v[5:6], v[5:6], |v[1:2]|, 1.0
	v_mov_b32_e32 v2, 0xbf23e260
	v_cndmask_b32_e32 v13, v4, v6, vcc
	v_cndmask_b32_e32 v12, v1, v5, vcc
	v_mul_f64 v[14:15], v[12:13], v[12:13]
	v_mov_b32_e32 v1, 0xbd3237f4
	v_lshlrev_b64 v[3:4], 3, v[10:11]
	v_mov_b32_e32 v11, s31
	v_fma_f64 v[1:2], v[14:15], s[0:1], v[1:2]
	s_mov_b32 s0, 0x69efb384
	s_mov_b32 s1, 0x3f4b2bb0
	v_fma_f64 v[1:2], v[14:15], v[1:2], s[0:1]
	s_mov_b32 s0, 0xaf56de9b
	s_mov_b32 s1, 0xbf67952d
	;; [unrolled: 3-line block ×10, first 2 shown]
	v_fma_f64 v[1:2], v[14:15], v[1:2], s[0:1]
	v_fma_f64 v[5:6], v[14:15], v[1:2], s[2:3]
	v_add_co_u32_e64 v1, s[0:1], s22, v3
	v_addc_co_u32_e64 v2, s[0:1], v7, v4, s[0:1]
	global_load_dwordx2 v[19:20], v[1:2], off
	v_ashrrev_i32_e32 v1, 31, v0
	v_add_u32_e32 v2, s28, v0
	v_fma_f64 v[4:5], v[14:15], v[5:6], s[18:19]
	v_lshlrev_b64 v[0:1], 3, v[0:1]
	v_ashrrev_i32_e32 v3, 31, v2
	v_lshlrev_b64 v[2:3], 3, v[2:3]
	v_add_co_u32_e64 v21, s[0:1], s30, v0
	v_addc_co_u32_e64 v22, s[0:1], v9, v1, s[0:1]
	v_fma_f64 v[23:24], v[14:15], v[4:5], s[20:21]
	v_add_co_u32_e64 v25, s[0:1], s30, v2
	v_addc_co_u32_e64 v26, s[0:1], v11, v3, s[0:1]
	global_load_dwordx4 v[0:3], v[21:22], off
	global_load_dwordx4 v[4:7], v[25:26], off
	s_mov_b32 s0, 0x19378e4f
	s_mov_b32 s1, 0xbfb745d1
	v_fma_f64 v[21:22], v[14:15], v[23:24], s[0:1]
	s_mov_b32 s0, 0x17e1913c
	s_mov_b32 s1, 0x3fbc71c7
                                        ; implicit-def: $vgpr9
	v_fma_f64 v[21:22], v[14:15], v[21:22], s[0:1]
	s_mov_b32 s0, 0x92376b7d
	s_mov_b32 s1, 0xbfc24924
	v_fma_f64 v[21:22], v[14:15], v[21:22], s[0:1]
	s_mov_b32 s0, 0x999952cc
	s_mov_b32 s1, 0x3fc99999
	;; [unrolled: 3-line block ×4, first 2 shown]
	v_mul_f64 v[14:15], v[14:15], v[21:22]
	v_fma_f64 v[11:12], v[12:13], v[14:15], v[12:13]
	v_mov_b32_e32 v13, 0xeeb562d6
	v_mov_b32_e32 v14, 0x3ffaf154
                                        ; implicit-def: $vgpr15_vgpr16
	v_fma_f64 v[13:14], s[0:1], v[13:14], -v[11:12]
	s_mov_b32 s0, 0
	s_mov_b32 s1, 0x41d00000
	v_cndmask_b32_e32 v12, v12, v14, vcc
	v_cndmask_b32_e32 v11, v11, v13, vcc
	v_cmp_nlt_f64_e64 s[0:1], |v[11:12]|, s[0:1]
                                        ; implicit-def: $vgpr13_vgpr14
	s_and_saveexec_b64 s[2:3], s[0:1]
	s_xor_b64 s[2:3], exec, s[2:3]
	s_cbranch_execz .LBB6_3
; %bb.2:
	v_trig_preop_f64 v[13:14], |v[11:12]|, 0
	s_mov_b32 s0, 0
	s_mov_b32 s1, 0x7b000000
	s_movk_i32 s7, 0xff80
	v_ldexp_f64 v[21:22], |v[11:12]|, s7
	v_cmp_ge_f64_e64 vcc, |v[11:12]|, s[0:1]
	v_trig_preop_f64 v[15:16], |v[11:12]|, 1
	v_and_b32_e32 v9, 0x7fffffff, v12
	v_trig_preop_f64 v[27:28], |v[11:12]|, 2
	s_mov_b32 s0, 0
	s_mov_b32 s1, 0x7ff00000
	;; [unrolled: 1-line block ×4, first 2 shown]
	v_cndmask_b32_e32 v22, v9, v22, vcc
	v_cndmask_b32_e32 v21, v11, v21, vcc
	v_mov_b32_e32 v9, 0x40100000
	v_mul_f64 v[23:24], v[13:14], v[21:22]
	v_mul_f64 v[25:26], v[15:16], v[21:22]
	;; [unrolled: 1-line block ×3, first 2 shown]
	v_fma_f64 v[13:14], v[13:14], v[21:22], -v[23:24]
	v_fma_f64 v[15:16], v[15:16], v[21:22], -v[25:26]
	;; [unrolled: 1-line block ×3, first 2 shown]
	v_add_f64 v[29:30], v[25:26], v[13:14]
	v_add_f64 v[37:38], v[33:34], v[15:16]
	v_add_f64 v[31:32], v[29:30], -v[25:26]
	v_add_f64 v[35:36], v[29:30], -v[31:32]
	;; [unrolled: 1-line block ×3, first 2 shown]
	v_add_f64 v[31:32], v[23:24], v[29:30]
	v_add_f64 v[25:26], v[25:26], -v[35:36]
	v_add_f64 v[35:36], v[37:38], -v[33:34]
	;; [unrolled: 1-line block ×3, first 2 shown]
	v_ldexp_f64 v[31:32], v[31:32], -2
	v_add_f64 v[13:14], v[13:14], v[25:26]
	v_add_f64 v[15:16], v[15:16], -v[35:36]
	v_add_f64 v[25:26], v[37:38], -v[35:36]
	v_fract_f64_e32 v[35:36], v[31:32]
	v_add_f64 v[23:24], v[29:30], -v[23:24]
	v_cmp_neq_f64_e64 vcc, |v[31:32]|, s[0:1]
	v_add_f64 v[29:30], v[37:38], v[13:14]
	v_add_f64 v[25:26], v[33:34], -v[25:26]
	v_ldexp_f64 v[35:36], v[35:36], 2
	v_add_f64 v[31:32], v[29:30], -v[37:38]
	v_add_f64 v[15:16], v[15:16], v[25:26]
	v_cndmask_b32_e32 v26, 0, v36, vcc
	v_cndmask_b32_e32 v25, 0, v35, vcc
	v_add_f64 v[35:36], v[23:24], v[29:30]
	v_add_f64 v[13:14], v[13:14], -v[31:32]
	v_add_f64 v[31:32], v[29:30], -v[31:32]
	;; [unrolled: 1-line block ×4, first 2 shown]
	v_add_f64 v[37:38], v[35:36], v[25:26]
	v_add_f64 v[23:24], v[29:30], -v[23:24]
	v_add_f64 v[13:14], v[13:14], v[31:32]
	v_cmp_gt_f64_e32 vcc, 0, v[37:38]
	v_mov_b32_e32 v37, 0
	v_add_f64 v[13:14], v[15:16], v[13:14]
	v_cndmask_b32_e32 v38, 0, v9, vcc
	v_add_f64 v[25:26], v[25:26], v[37:38]
	v_add_f64 v[13:14], v[21:22], v[13:14]
	;; [unrolled: 1-line block ×4, first 2 shown]
	v_mov_b32_e32 v23, 0x3ff00000
	v_cvt_i32_f64_e32 v9, v[31:32]
	v_cvt_f64_i32_e32 v[31:32], v9
	v_add_f64 v[25:26], v[25:26], -v[31:32]
	v_add_f64 v[15:16], v[35:36], v[25:26]
	v_add_f64 v[21:22], v[15:16], -v[25:26]
	v_cmp_le_f64_e32 vcc, 0.5, v[15:16]
	v_add_f64 v[21:22], v[35:36], -v[21:22]
	v_cndmask_b32_e32 v38, 0, v23, vcc
	v_add_f64 v[15:16], v[15:16], -v[37:38]
	v_addc_co_u32_e64 v9, s[0:1], 0, v9, vcc
	s_mov_b32 s0, 0x54442d18
	s_mov_b32 s1, 0x3ff921fb
	v_add_f64 v[13:14], v[13:14], v[21:22]
	v_add_f64 v[21:22], v[15:16], v[13:14]
	v_mul_f64 v[23:24], v[21:22], s[0:1]
	v_add_f64 v[15:16], v[21:22], -v[15:16]
	v_fma_f64 v[25:26], v[21:22], s[0:1], -v[23:24]
	v_add_f64 v[13:14], v[13:14], -v[15:16]
	v_fma_f64 v[15:16], v[21:22], s[18:19], v[25:26]
	v_fma_f64 v[15:16], v[13:14], s[0:1], v[15:16]
	v_add_f64 v[13:14], v[23:24], v[15:16]
	v_add_f64 v[21:22], v[13:14], -v[23:24]
	v_add_f64 v[15:16], v[15:16], -v[21:22]
.LBB6_3:
	s_andn2_saveexec_b64 s[0:1], s[2:3]
	s_cbranch_execz .LBB6_5
; %bb.4:
	s_mov_b32 s2, 0x6dc9c883
	s_mov_b32 s3, 0x3fe45f30
	v_mul_f64 v[13:14], |v[11:12]|, s[2:3]
	s_mov_b32 s2, 0x54442d18
	s_mov_b32 s3, 0xbff921fb
	;; [unrolled: 1-line block ×4, first 2 shown]
	v_rndne_f64_e32 v[21:22], v[13:14]
	v_fma_f64 v[13:14], v[21:22], s[2:3], |v[11:12]|
	v_mul_f64 v[15:16], v[21:22], s[18:19]
	s_mov_b32 s2, 0x252049c0
	s_mov_b32 s3, 0xb97b839a
	v_cvt_i32_f64_e32 v9, v[21:22]
	v_fma_f64 v[27:28], v[21:22], s[18:19], v[13:14]
	v_add_f64 v[23:24], v[13:14], v[15:16]
	s_mov_b32 s19, 0x3c91a626
	v_add_f64 v[25:26], v[13:14], -v[23:24]
	v_add_f64 v[23:24], v[23:24], -v[27:28]
	v_add_f64 v[13:14], v[25:26], v[15:16]
	v_fma_f64 v[15:16], v[21:22], s[18:19], v[15:16]
	v_add_f64 v[13:14], v[23:24], v[13:14]
	v_add_f64 v[13:14], v[13:14], -v[15:16]
	v_fma_f64 v[15:16], v[21:22], s[2:3], v[13:14]
	v_add_f64 v[13:14], v[27:28], v[15:16]
	v_add_f64 v[23:24], v[13:14], -v[27:28]
	v_add_f64 v[15:16], v[15:16], -v[23:24]
.LBB6_5:
	s_or_b64 exec, exec, s[0:1]
	s_waitcnt vmcnt(2)
	v_fma_f64 v[19:20], s[12:13], 0.5, v[19:20]
	s_load_dwordx2 s[4:5], s[4:5], 0x0
                                        ; implicit-def: $vgpr29
	v_add_f64 v[19:20], v[19:20], -s[16:17]
	v_div_scale_f64 v[21:22], s[0:1], v[17:18], v[17:18], v[19:20]
	v_rcp_f64_e32 v[23:24], v[21:22]
	v_fma_f64 v[25:26], -v[21:22], v[23:24], 1.0
	v_fma_f64 v[23:24], v[23:24], v[25:26], v[23:24]
	v_div_scale_f64 v[25:26], vcc, v[19:20], v[17:18], v[19:20]
	v_fma_f64 v[27:28], -v[21:22], v[23:24], 1.0
	v_fma_f64 v[23:24], v[23:24], v[27:28], v[23:24]
	v_mul_f64 v[27:28], v[25:26], v[23:24]
	v_fma_f64 v[21:22], -v[21:22], v[27:28], v[25:26]
	v_div_fmas_f64 v[21:22], v[21:22], v[23:24], v[27:28]
	v_div_fixup_f64 v[17:18], v[21:22], v[17:18], v[19:20]
	v_and_b32_e32 v20, 0x7fffffff, v18
	v_mov_b32_e32 v19, v17
	v_div_scale_f64 v[21:22], s[0:1], v[19:20], v[19:20], 1.0
	s_mov_b32 s0, 0xb5e68a13
	s_mov_b32 s1, 0x3eeba404
	v_rcp_f64_e32 v[23:24], v[21:22]
	v_fma_f64 v[25:26], -v[21:22], v[23:24], 1.0
	v_fma_f64 v[23:24], v[23:24], v[25:26], v[23:24]
	v_div_scale_f64 v[25:26], vcc, 1.0, v[19:20], 1.0
	v_fma_f64 v[27:28], -v[21:22], v[23:24], 1.0
	v_fma_f64 v[23:24], v[23:24], v[27:28], v[23:24]
	v_mul_f64 v[27:28], v[25:26], v[23:24]
	v_fma_f64 v[21:22], -v[21:22], v[27:28], v[25:26]
	v_div_fmas_f64 v[21:22], v[21:22], v[23:24], v[27:28]
	v_cmp_gt_f64_e64 vcc, |v[17:18]|, 1.0
	v_div_fixup_f64 v[21:22], v[21:22], |v[17:18]|, 1.0
	v_cndmask_b32_e32 v18, v20, v22, vcc
	v_cndmask_b32_e32 v17, v17, v21, vcc
	v_mul_f64 v[19:20], v[17:18], v[17:18]
	v_mov_b32_e32 v21, 0xbd3237f4
	v_mov_b32_e32 v22, 0xbf23e260
	v_fma_f64 v[21:22], v[19:20], s[0:1], v[21:22]
	s_mov_b32 s0, 0x69efb384
	s_mov_b32 s1, 0x3f4b2bb0
	v_fma_f64 v[21:22], v[19:20], v[21:22], s[0:1]
	s_mov_b32 s0, 0xaf56de9b
	s_mov_b32 s1, 0xbf67952d
	;; [unrolled: 3-line block ×19, first 2 shown]
	v_mul_f64 v[19:20], v[19:20], v[21:22]
                                        ; implicit-def: $vgpr21_vgpr22
	v_fma_f64 v[17:18], v[17:18], v[19:20], v[17:18]
	v_mov_b32_e32 v19, 0xeeb562d6
	v_mov_b32_e32 v20, 0x3ffaf154
	v_fma_f64 v[19:20], s[0:1], v[19:20], -v[17:18]
	s_mov_b32 s0, 0
	s_mov_b32 s1, 0x41d00000
	v_cndmask_b32_e32 v18, v18, v20, vcc
	v_cndmask_b32_e32 v17, v17, v19, vcc
	v_cmp_nlt_f64_e64 s[0:1], |v[17:18]|, s[0:1]
                                        ; implicit-def: $vgpr19_vgpr20
	s_and_saveexec_b64 s[2:3], s[0:1]
	s_xor_b64 s[0:1], exec, s[2:3]
	s_cbranch_execz .LBB6_7
; %bb.6:
	v_trig_preop_f64 v[21:22], |v[17:18]|, 0
	s_mov_b32 s2, 0
	s_mov_b32 s3, 0x7b000000
	s_movk_i32 s7, 0xff80
	v_cmp_ge_f64_e64 vcc, |v[17:18]|, s[2:3]
	v_ldexp_f64 v[19:20], |v[17:18]|, s7
	v_trig_preop_f64 v[23:24], |v[17:18]|, 1
	v_and_b32_e32 v25, 0x7fffffff, v18
	v_trig_preop_f64 v[31:32], |v[17:18]|, 2
	s_mov_b32 s2, 0
	s_mov_b32 s3, 0x7ff00000
	s_mov_b32 s16, 0x33145c07
	s_mov_b32 s17, 0x3c91a626
	v_cndmask_b32_e32 v20, v25, v20, vcc
	v_cndmask_b32_e32 v19, v17, v19, vcc
	v_mul_f64 v[25:26], v[21:22], v[19:20]
	v_mul_f64 v[27:28], v[23:24], v[19:20]
	;; [unrolled: 1-line block ×3, first 2 shown]
	v_fma_f64 v[21:22], v[21:22], v[19:20], -v[25:26]
	v_fma_f64 v[23:24], v[23:24], v[19:20], -v[27:28]
	;; [unrolled: 1-line block ×3, first 2 shown]
	v_add_f64 v[29:30], v[27:28], v[21:22]
	v_add_f64 v[33:34], v[29:30], -v[27:28]
	v_add_f64 v[39:40], v[25:26], v[29:30]
	v_add_f64 v[35:36], v[29:30], -v[33:34]
	v_add_f64 v[21:22], v[21:22], -v[33:34]
	v_add_f64 v[33:34], v[37:38], v[23:24]
	v_add_f64 v[25:26], v[39:40], -v[25:26]
	v_add_f64 v[27:28], v[27:28], -v[35:36]
	v_ldexp_f64 v[35:36], v[39:40], -2
	v_add_f64 v[43:44], v[33:34], -v[37:38]
	v_add_f64 v[25:26], v[29:30], -v[25:26]
	v_add_f64 v[21:22], v[21:22], v[27:28]
	v_fract_f64_e32 v[27:28], v[35:36]
	v_cmp_neq_f64_e64 vcc, |v[35:36]|, s[2:3]
	v_add_f64 v[23:24], v[23:24], -v[43:44]
	v_add_f64 v[43:44], v[33:34], -v[43:44]
	s_mov_b32 s2, 0x54442d18
	s_mov_b32 s3, 0x3ff921fb
	v_add_f64 v[29:30], v[33:34], v[21:22]
	v_ldexp_f64 v[27:28], v[27:28], 2
	v_add_f64 v[35:36], v[25:26], v[29:30]
	v_cndmask_b32_e32 v28, 0, v28, vcc
	v_cndmask_b32_e32 v27, 0, v27, vcc
	v_add_f64 v[41:42], v[29:30], -v[33:34]
	v_add_f64 v[39:40], v[35:36], v[27:28]
	v_add_f64 v[25:26], v[35:36], -v[25:26]
	v_add_f64 v[21:22], v[21:22], -v[41:42]
	;; [unrolled: 1-line block ×3, first 2 shown]
	v_cmp_gt_f64_e32 vcc, 0, v[39:40]
	v_mov_b32_e32 v40, 0x40100000
	v_mov_b32_e32 v39, 0
	v_add_f64 v[25:26], v[29:30], -v[25:26]
	v_add_f64 v[33:34], v[33:34], -v[41:42]
	;; [unrolled: 1-line block ×3, first 2 shown]
	v_cndmask_b32_e32 v40, 0, v40, vcc
	v_add_f64 v[27:28], v[27:28], v[39:40]
	v_add_f64 v[21:22], v[21:22], v[33:34]
	;; [unrolled: 1-line block ×5, first 2 shown]
	v_cvt_i32_f64_e32 v44, v[40:41]
	v_add_f64 v[19:20], v[19:20], v[21:22]
	v_cvt_f64_i32_e32 v[40:41], v44
	v_add_f64 v[27:28], v[27:28], -v[40:41]
	v_add_f64 v[19:20], v[25:26], v[19:20]
	v_mov_b32_e32 v25, 0x3ff00000
	v_add_f64 v[23:24], v[35:36], v[27:28]
	v_add_f64 v[21:22], v[23:24], -v[27:28]
	v_cmp_le_f64_e32 vcc, 0.5, v[23:24]
	v_add_f64 v[21:22], v[35:36], -v[21:22]
	v_cndmask_b32_e32 v40, 0, v25, vcc
	v_addc_co_u32_e32 v29, vcc, 0, v44, vcc
	v_add_f64 v[19:20], v[19:20], v[21:22]
	v_add_f64 v[21:22], v[23:24], -v[39:40]
	v_add_f64 v[23:24], v[21:22], v[19:20]
	v_mul_f64 v[25:26], v[23:24], s[2:3]
	v_add_f64 v[21:22], v[23:24], -v[21:22]
	v_fma_f64 v[27:28], v[23:24], s[2:3], -v[25:26]
	v_add_f64 v[19:20], v[19:20], -v[21:22]
	v_fma_f64 v[21:22], v[23:24], s[16:17], v[27:28]
	v_fma_f64 v[21:22], v[19:20], s[2:3], v[21:22]
	v_add_f64 v[19:20], v[25:26], v[21:22]
	v_add_f64 v[23:24], v[19:20], -v[25:26]
	v_add_f64 v[21:22], v[21:22], -v[23:24]
.LBB6_7:
	s_andn2_saveexec_b64 s[0:1], s[0:1]
	s_cbranch_execz .LBB6_9
; %bb.8:
	s_mov_b32 s2, 0x6dc9c883
	s_mov_b32 s3, 0x3fe45f30
	v_mul_f64 v[19:20], |v[17:18]|, s[2:3]
	s_mov_b32 s2, 0x54442d18
	s_mov_b32 s3, 0xbff921fb
	;; [unrolled: 1-line block ×4, first 2 shown]
	v_rndne_f64_e32 v[23:24], v[19:20]
	v_fma_f64 v[19:20], v[23:24], s[2:3], |v[17:18]|
	v_mul_f64 v[21:22], v[23:24], s[16:17]
	s_mov_b32 s2, 0x252049c0
	s_mov_b32 s3, 0xb97b839a
	v_fma_f64 v[29:30], v[23:24], s[16:17], v[19:20]
	v_add_f64 v[25:26], v[19:20], v[21:22]
	s_mov_b32 s17, 0x3c91a626
	v_add_f64 v[27:28], v[19:20], -v[25:26]
	v_add_f64 v[25:26], v[25:26], -v[29:30]
	v_add_f64 v[19:20], v[27:28], v[21:22]
	v_fma_f64 v[21:22], v[23:24], s[16:17], v[21:22]
	v_add_f64 v[19:20], v[25:26], v[19:20]
	v_add_f64 v[19:20], v[19:20], -v[21:22]
	v_fma_f64 v[21:22], v[23:24], s[2:3], v[19:20]
	v_add_f64 v[19:20], v[29:30], v[21:22]
	v_add_f64 v[25:26], v[19:20], -v[29:30]
	v_cvt_i32_f64_e32 v29, v[23:24]
	v_add_f64 v[21:22], v[21:22], -v[25:26]
.LBB6_9:
	s_or_b64 exec, exec, s[0:1]
	v_mul_f64 v[23:24], v[13:14], v[13:14]
	s_mov_b32 s2, 0x9037ab78
	s_mov_b32 s3, 0x3e21eeb6
	;; [unrolled: 1-line block ×3, first 2 shown]
	v_mov_b32_e32 v28, s3
	s_mov_b32 s1, 0xbda907db
	v_mov_b32_e32 v27, s2
	s_mov_b32 s2, 0xa17f65f6
	v_fma_f64 v[25:26], v[23:24], s[0:1], v[27:28]
	v_mul_f64 v[30:31], v[23:24], 0.5
	s_mov_b32 s3, 0xbe927e4f
	s_mov_b32 s20, 0xb42fdfa7
	;; [unrolled: 1-line block ×5, first 2 shown]
	v_mov_b32_e32 v37, s21
	v_fma_f64 v[32:33], v[23:24], v[25:26], s[2:3]
	v_add_f64 v[25:26], -v[30:31], 1.0
	s_mov_b32 s17, 0x3efa01a0
	s_mov_b32 s19, 0x3de5e0b2
	v_mov_b32_e32 v36, s20
	v_fma_f64 v[38:39], v[23:24], s[18:19], v[36:37]
	s_mov_b32 s20, 0x16c16967
	s_mov_b32 s28, 0x796cde01
	v_fma_f64 v[32:33], v[23:24], v[32:33], s[16:17]
	v_add_f64 v[34:35], -v[25:26], 1.0
	s_mov_b32 s21, 0xbf56c16c
	s_mov_b32 s29, 0x3ec71de3
	s_mov_b32 s22, 0x55555555
	s_mov_b32 s30, 0x19e83e5c
	s_mov_b32 s23, 0x3fa55555
	s_mov_b32 s31, 0xbf2a01a0
	v_fma_f64 v[32:33], v[23:24], v[32:33], s[20:21]
	v_add_f64 v[30:31], v[34:35], -v[30:31]
	v_fma_f64 v[34:35], v[23:24], v[38:39], s[28:29]
	v_mul_f64 v[38:39], v[23:24], v[23:24]
	s_mov_b32 s34, 0x11110bb3
	s_mov_b32 s35, 0x3f811111
	v_mul_f64 v[40:41], v[15:16], 0.5
	v_mul_f64 v[42:43], v[21:22], 0.5
	v_fma_f64 v[32:33], v[23:24], v[32:33], s[22:23]
	v_fma_f64 v[30:31], v[13:14], -v[15:16], v[30:31]
	v_fma_f64 v[34:35], v[23:24], v[34:35], s[30:31]
	v_fma_f64 v[30:31], v[38:39], v[32:33], v[30:31]
	v_mul_f64 v[32:33], v[13:14], -v[23:24]
	v_fma_f64 v[34:35], v[23:24], v[34:35], s[34:35]
	v_mul_f64 v[38:39], v[19:20], v[19:20]
	v_fma_f64 v[34:35], v[32:33], v[34:35], v[40:41]
	v_mul_f64 v[40:41], v[38:39], 0.5
	v_fma_f64 v[36:37], v[38:39], s[18:19], v[36:37]
	v_fma_f64 v[27:28], v[38:39], s[0:1], v[27:28]
	s_mov_b32 s1, 0xbfc55555
	s_mov_b32 s0, s22
	v_fma_f64 v[15:16], v[23:24], v[34:35], -v[15:16]
	v_add_f64 v[23:24], -v[40:41], 1.0
	v_fma_f64 v[34:35], v[38:39], v[36:37], s[28:29]
	v_fma_f64 v[27:28], v[38:39], v[27:28], s[2:3]
	s_movk_i32 s2, 0x1f8
	v_fma_f64 v[15:16], v[32:33], s[0:1], v[15:16]
	v_add_f64 v[36:37], -v[23:24], 1.0
	v_fma_f64 v[34:35], v[38:39], v[34:35], s[30:31]
	v_fma_f64 v[27:28], v[38:39], v[27:28], s[16:17]
	v_mul_f64 v[32:33], v[38:39], v[38:39]
	v_add_f64 v[13:14], v[13:14], -v[15:16]
	v_add_f64 v[36:37], v[36:37], -v[40:41]
	v_fma_f64 v[34:35], v[38:39], v[34:35], s[34:35]
	v_mul_f64 v[40:41], v[19:20], -v[38:39]
	v_fma_f64 v[27:28], v[38:39], v[27:28], s[20:21]
	v_add_f64 v[15:16], v[25:26], v[30:31]
	v_xor_b32_e32 v14, 0x80000000, v14
	v_fma_f64 v[36:37], v[19:20], -v[21:22], v[36:37]
	v_fma_f64 v[34:35], v[40:41], v[34:35], v[42:43]
	v_fma_f64 v[27:28], v[38:39], v[27:28], s[22:23]
	v_fma_f64 v[21:22], v[38:39], v[34:35], -v[21:22]
	v_fma_f64 v[25:26], v[32:33], v[27:28], v[36:37]
	v_and_b32_e32 v27, 1, v9
	v_cmp_eq_u32_e32 vcc, 0, v27
	v_cndmask_b32_e32 v27, v13, v15, vcc
	v_cndmask_b32_e32 v28, v14, v16, vcc
	v_cmp_class_f64_e64 vcc, v[11:12], s2
	v_cmp_class_f64_e64 s[2:3], v[17:18], s2
	v_fma_f64 v[21:22], v[40:41], s[0:1], v[21:22]
	v_add_f64 v[13:14], v[23:24], v[25:26]
	v_lshlrev_b32_e32 v9, 30, v9
	v_and_b32_e32 v9, 0x80000000, v9
	v_xor_b32_e32 v9, v28, v9
	v_and_b32_e32 v12, 1, v29
	v_cmp_eq_u32_e64 s[0:1], 0, v12
	v_cndmask_b32_e32 v11, 0, v27, vcc
	v_add_f64 v[15:16], v[19:20], -v[21:22]
	v_mov_b32_e32 v19, 0x7ff80000
	v_cndmask_b32_e32 v12, v19, v9, vcc
	v_xor_b32_e32 v9, 0x80000000, v16
	v_cndmask_b32_e64 v9, v9, v14, s[0:1]
	v_lshlrev_b32_e32 v14, 30, v29
	v_and_b32_e32 v14, 0x80000000, v14
	v_cndmask_b32_e64 v13, v15, v13, s[0:1]
	v_xor_b32_e32 v9, v9, v14
	v_cndmask_b32_e64 v13, 0, v13, s[2:3]
	v_cndmask_b32_e64 v14, v19, v9, s[2:3]
	v_mul_f64 v[11:12], v[11:12], v[13:14]
	v_mov_b32_e32 v13, s10
	v_mov_b32_e32 v14, s11
	v_mul_f64 v[13:14], s[8:9], v[13:14]
	s_waitcnt vmcnt(0)
	v_cmp_eq_f64_e64 s[2:3], 0, v[6:7]
	v_mul_f64 v[11:12], s[12:13], v[11:12]
	v_mul_f64 v[13:14], v[13:14], s[26:27]
	;; [unrolled: 1-line block ×3, first 2 shown]
	v_div_scale_f64 v[15:16], s[0:1], v[11:12], v[11:12], v[13:14]
	s_mul_i32 s0, s6, s24
	v_add_u32_e32 v9, s0, v10
	v_mad_u64_u32 v[8:9], s[0:1], v9, s25, v[8:9]
	s_waitcnt lgkmcnt(0)
	v_mov_b32_e32 v10, s5
	v_cmp_eq_f64_e64 s[0:1], 0, v[2:3]
	v_ashrrev_i32_e32 v9, 31, v8
	v_lshlrev_b64 v[8:9], 3, v[8:9]
	v_add_co_u32_e32 v8, vcc, s4, v8
	v_addc_co_u32_e32 v9, vcc, v10, v9, vcc
	global_load_dwordx2 v[19:20], v[8:9], off
	v_rcp_f64_e32 v[17:18], v[15:16]
	v_div_scale_f64 v[23:24], vcc, v[13:14], v[11:12], v[13:14]
	s_and_b64 s[0:1], s[0:1], s[2:3]
	v_cndmask_b32_e64 v3, v3, v1, s[0:1]
	v_cndmask_b32_e64 v2, v2, v0, s[0:1]
	;; [unrolled: 1-line block ×4, first 2 shown]
	v_add_f64 v[2:3], v[6:7], -v[2:3]
	v_fma_f64 v[21:22], -v[15:16], v[17:18], 1.0
	v_add_f64 v[2:3], v[2:3], -v[4:5]
	v_fma_f64 v[17:18], v[17:18], v[21:22], v[17:18]
	v_add_f64 v[0:1], v[0:1], v[2:3]
	v_fma_f64 v[21:22], -v[15:16], v[17:18], 1.0
	v_fma_f64 v[17:18], v[17:18], v[21:22], v[17:18]
	v_mul_f64 v[21:22], v[23:24], v[17:18]
	v_fma_f64 v[15:16], -v[15:16], v[21:22], v[23:24]
	v_div_fmas_f64 v[6:7], v[15:16], v[17:18], v[21:22]
	v_div_fixup_f64 v[2:3], v[6:7], v[11:12], v[13:14]
	s_waitcnt vmcnt(0)
	v_fma_f64 v[0:1], v[0:1], v[2:3], v[19:20]
	global_store_dwordx2 v[8:9], v[0:1], off
.LBB6_10:
	s_endpgm
	.section	.rodata,"a",@progbits
	.p2align	6, 0x0
	.amdhsa_kernel _Z22differentiation_kernelPdPKddddS1_S1_S1_iiiidddddi
		.amdhsa_group_segment_fixed_size 0
		.amdhsa_private_segment_fixed_size 0
		.amdhsa_kernarg_size 384
		.amdhsa_user_sgpr_count 6
		.amdhsa_user_sgpr_private_segment_buffer 1
		.amdhsa_user_sgpr_dispatch_ptr 0
		.amdhsa_user_sgpr_queue_ptr 0
		.amdhsa_user_sgpr_kernarg_segment_ptr 1
		.amdhsa_user_sgpr_dispatch_id 0
		.amdhsa_user_sgpr_flat_scratch_init 0
		.amdhsa_user_sgpr_private_segment_size 0
		.amdhsa_uses_dynamic_stack 0
		.amdhsa_system_sgpr_private_segment_wavefront_offset 0
		.amdhsa_system_sgpr_workgroup_id_x 1
		.amdhsa_system_sgpr_workgroup_id_y 1
		.amdhsa_system_sgpr_workgroup_id_z 0
		.amdhsa_system_sgpr_workgroup_info 0
		.amdhsa_system_vgpr_workitem_id 1
		.amdhsa_next_free_vgpr 45
		.amdhsa_next_free_sgpr 36
		.amdhsa_reserve_vcc 1
		.amdhsa_reserve_flat_scratch 0
		.amdhsa_float_round_mode_32 0
		.amdhsa_float_round_mode_16_64 0
		.amdhsa_float_denorm_mode_32 3
		.amdhsa_float_denorm_mode_16_64 3
		.amdhsa_dx10_clamp 1
		.amdhsa_ieee_mode 1
		.amdhsa_fp16_overflow 0
		.amdhsa_exception_fp_ieee_invalid_op 0
		.amdhsa_exception_fp_denorm_src 0
		.amdhsa_exception_fp_ieee_div_zero 0
		.amdhsa_exception_fp_ieee_overflow 0
		.amdhsa_exception_fp_ieee_underflow 0
		.amdhsa_exception_fp_ieee_inexact 0
		.amdhsa_exception_int_div_zero 0
	.end_amdhsa_kernel
	.text
.Lfunc_end6:
	.size	_Z22differentiation_kernelPdPKddddS1_S1_S1_iiiidddddi, .Lfunc_end6-_Z22differentiation_kernelPdPKddddS1_S1_S1_iiiidddddi
                                        ; -- End function
	.set _Z22differentiation_kernelPdPKddddS1_S1_S1_iiiidddddi.num_vgpr, 45
	.set _Z22differentiation_kernelPdPKddddS1_S1_S1_iiiidddddi.num_agpr, 0
	.set _Z22differentiation_kernelPdPKddddS1_S1_S1_iiiidddddi.numbered_sgpr, 36
	.set _Z22differentiation_kernelPdPKddddS1_S1_S1_iiiidddddi.num_named_barrier, 0
	.set _Z22differentiation_kernelPdPKddddS1_S1_S1_iiiidddddi.private_seg_size, 0
	.set _Z22differentiation_kernelPdPKddddS1_S1_S1_iiiidddddi.uses_vcc, 1
	.set _Z22differentiation_kernelPdPKddddS1_S1_S1_iiiidddddi.uses_flat_scratch, 0
	.set _Z22differentiation_kernelPdPKddddS1_S1_S1_iiiidddddi.has_dyn_sized_stack, 0
	.set _Z22differentiation_kernelPdPKddddS1_S1_S1_iiiidddddi.has_recursion, 0
	.set _Z22differentiation_kernelPdPKddddS1_S1_S1_iiiidddddi.has_indirect_call, 0
	.section	.AMDGPU.csdata,"",@progbits
; Kernel info:
; codeLenInByte = 4616
; TotalNumSgprs: 40
; NumVgprs: 45
; ScratchSize: 0
; MemoryBound: 0
; FloatMode: 240
; IeeeMode: 1
; LDSByteSize: 0 bytes/workgroup (compile time only)
; SGPRBlocks: 4
; VGPRBlocks: 11
; NumSGPRsForWavesPerEU: 40
; NumVGPRsForWavesPerEU: 45
; Occupancy: 5
; WaveLimiterHint : 0
; COMPUTE_PGM_RSRC2:SCRATCH_EN: 0
; COMPUTE_PGM_RSRC2:USER_SGPR: 6
; COMPUTE_PGM_RSRC2:TRAP_HANDLER: 0
; COMPUTE_PGM_RSRC2:TGID_X_EN: 1
; COMPUTE_PGM_RSRC2:TGID_Y_EN: 1
; COMPUTE_PGM_RSRC2:TGID_Z_EN: 0
; COMPUTE_PGM_RSRC2:TIDIG_COMP_CNT: 1
	.text
	.protected	_Z15division_kernelPdiiii ; -- Begin function _Z15division_kernelPdiiii
	.globl	_Z15division_kernelPdiiii
	.p2align	8
	.type	_Z15division_kernelPdiiii,@function
_Z15division_kernelPdiiii:              ; @_Z15division_kernelPdiiii
; %bb.0:
	s_load_dwordx2 s[0:1], s[4:5], 0x24
	s_load_dwordx4 s[12:15], s[4:5], 0x8
	s_waitcnt lgkmcnt(0)
	s_lshr_b32 s2, s0, 16
	s_and_b32 s0, s0, 0xffff
	s_and_b32 s1, s1, 0xffff
	s_mul_i32 s6, s6, s0
	s_mul_i32 s7, s7, s2
	v_add_u32_e32 v0, s6, v0
	v_add_u32_e32 v1, s7, v1
	s_mul_i32 s8, s8, s1
	v_add_u32_e32 v2, s8, v2
	v_cmp_gt_i32_e32 vcc, s13, v0
	v_cmp_gt_i32_e64 s[0:1], s12, v1
	s_and_b64 s[0:1], vcc, s[0:1]
	v_cmp_gt_i32_e32 vcc, s14, v2
	s_and_b64 s[0:1], s[0:1], vcc
	s_and_saveexec_b64 s[2:3], s[0:1]
	s_cbranch_execz .LBB7_2
; %bb.1:
	v_mad_u64_u32 v[1:2], s[0:1], v2, s12, v[1:2]
	s_load_dwordx2 s[0:1], s[4:5], 0x0
	v_cvt_f64_i32_e32 v[4:5], s15
	v_mad_u64_u32 v[0:1], s[2:3], v1, s13, v[0:1]
	s_waitcnt lgkmcnt(0)
	v_mov_b32_e32 v2, s1
	v_ashrrev_i32_e32 v1, 31, v0
	v_lshlrev_b64 v[0:1], 3, v[0:1]
	v_add_co_u32_e32 v0, vcc, s0, v0
	v_addc_co_u32_e32 v1, vcc, v2, v1, vcc
	global_load_dwordx2 v[2:3], v[0:1], off
	s_waitcnt vmcnt(0)
	v_div_scale_f64 v[6:7], s[0:1], v[4:5], v[4:5], v[2:3]
	v_div_scale_f64 v[12:13], vcc, v[2:3], v[4:5], v[2:3]
	v_rcp_f64_e32 v[8:9], v[6:7]
	v_fma_f64 v[10:11], -v[6:7], v[8:9], 1.0
	v_fma_f64 v[8:9], v[8:9], v[10:11], v[8:9]
	v_fma_f64 v[10:11], -v[6:7], v[8:9], 1.0
	v_fma_f64 v[8:9], v[8:9], v[10:11], v[8:9]
	v_mul_f64 v[10:11], v[12:13], v[8:9]
	v_fma_f64 v[6:7], -v[6:7], v[10:11], v[12:13]
	v_div_fmas_f64 v[6:7], v[6:7], v[8:9], v[10:11]
	v_div_fixup_f64 v[2:3], v[6:7], v[4:5], v[2:3]
	global_store_dwordx2 v[0:1], v[2:3], off
.LBB7_2:
	s_endpgm
	.section	.rodata,"a",@progbits
	.p2align	6, 0x0
	.amdhsa_kernel _Z15division_kernelPdiiii
		.amdhsa_group_segment_fixed_size 0
		.amdhsa_private_segment_fixed_size 0
		.amdhsa_kernarg_size 280
		.amdhsa_user_sgpr_count 6
		.amdhsa_user_sgpr_private_segment_buffer 1
		.amdhsa_user_sgpr_dispatch_ptr 0
		.amdhsa_user_sgpr_queue_ptr 0
		.amdhsa_user_sgpr_kernarg_segment_ptr 1
		.amdhsa_user_sgpr_dispatch_id 0
		.amdhsa_user_sgpr_flat_scratch_init 0
		.amdhsa_user_sgpr_private_segment_size 0
		.amdhsa_uses_dynamic_stack 0
		.amdhsa_system_sgpr_private_segment_wavefront_offset 0
		.amdhsa_system_sgpr_workgroup_id_x 1
		.amdhsa_system_sgpr_workgroup_id_y 1
		.amdhsa_system_sgpr_workgroup_id_z 1
		.amdhsa_system_sgpr_workgroup_info 0
		.amdhsa_system_vgpr_workitem_id 2
		.amdhsa_next_free_vgpr 14
		.amdhsa_next_free_sgpr 16
		.amdhsa_reserve_vcc 1
		.amdhsa_reserve_flat_scratch 0
		.amdhsa_float_round_mode_32 0
		.amdhsa_float_round_mode_16_64 0
		.amdhsa_float_denorm_mode_32 3
		.amdhsa_float_denorm_mode_16_64 3
		.amdhsa_dx10_clamp 1
		.amdhsa_ieee_mode 1
		.amdhsa_fp16_overflow 0
		.amdhsa_exception_fp_ieee_invalid_op 0
		.amdhsa_exception_fp_denorm_src 0
		.amdhsa_exception_fp_ieee_div_zero 0
		.amdhsa_exception_fp_ieee_overflow 0
		.amdhsa_exception_fp_ieee_underflow 0
		.amdhsa_exception_fp_ieee_inexact 0
		.amdhsa_exception_int_div_zero 0
	.end_amdhsa_kernel
	.text
.Lfunc_end7:
	.size	_Z15division_kernelPdiiii, .Lfunc_end7-_Z15division_kernelPdiiii
                                        ; -- End function
	.set _Z15division_kernelPdiiii.num_vgpr, 14
	.set _Z15division_kernelPdiiii.num_agpr, 0
	.set _Z15division_kernelPdiiii.numbered_sgpr, 16
	.set _Z15division_kernelPdiiii.num_named_barrier, 0
	.set _Z15division_kernelPdiiii.private_seg_size, 0
	.set _Z15division_kernelPdiiii.uses_vcc, 1
	.set _Z15division_kernelPdiiii.uses_flat_scratch, 0
	.set _Z15division_kernelPdiiii.has_dyn_sized_stack, 0
	.set _Z15division_kernelPdiiii.has_recursion, 0
	.set _Z15division_kernelPdiiii.has_indirect_call, 0
	.section	.AMDGPU.csdata,"",@progbits
; Kernel info:
; codeLenInByte = 260
; TotalNumSgprs: 20
; NumVgprs: 14
; ScratchSize: 0
; MemoryBound: 0
; FloatMode: 240
; IeeeMode: 1
; LDSByteSize: 0 bytes/workgroup (compile time only)
; SGPRBlocks: 2
; VGPRBlocks: 3
; NumSGPRsForWavesPerEU: 20
; NumVGPRsForWavesPerEU: 14
; Occupancy: 10
; WaveLimiterHint : 0
; COMPUTE_PGM_RSRC2:SCRATCH_EN: 0
; COMPUTE_PGM_RSRC2:USER_SGPR: 6
; COMPUTE_PGM_RSRC2:TRAP_HANDLER: 0
; COMPUTE_PGM_RSRC2:TGID_X_EN: 1
; COMPUTE_PGM_RSRC2:TGID_Y_EN: 1
; COMPUTE_PGM_RSRC2:TGID_Z_EN: 1
; COMPUTE_PGM_RSRC2:TIDIG_COMP_CNT: 2
	.section	.AMDGPU.gpr_maximums,"",@progbits
	.set amdgpu.max_num_vgpr, 0
	.set amdgpu.max_num_agpr, 0
	.set amdgpu.max_num_sgpr, 0
	.section	.AMDGPU.csdata,"",@progbits
	.type	__hip_cuid_8559cb693a2b7567,@object ; @__hip_cuid_8559cb693a2b7567
	.section	.bss,"aw",@nobits
	.globl	__hip_cuid_8559cb693a2b7567
__hip_cuid_8559cb693a2b7567:
	.byte	0                               ; 0x0
	.size	__hip_cuid_8559cb693a2b7567, 1

	.ident	"AMD clang version 22.0.0git (https://github.com/RadeonOpenCompute/llvm-project roc-7.2.4 26084 f58b06dce1f9c15707c5f808fd002e18c2accf7e)"
	.section	".note.GNU-stack","",@progbits
	.addrsig
	.addrsig_sym __hip_cuid_8559cb693a2b7567
	.amdgpu_metadata
---
amdhsa.kernels:
  - .args:
      - .address_space:  global
        .offset:         0
        .size:           8
        .value_kind:     global_buffer
      - .offset:         8
        .size:           4
        .value_kind:     by_value
      - .offset:         12
        .size:           4
        .value_kind:     by_value
      - .offset:         16
        .size:           4
        .value_kind:     by_value
      - .offset:         20
        .size:           4
        .value_kind:     by_value
      - .offset:         24
        .size:           4
        .value_kind:     hidden_block_count_x
      - .offset:         28
        .size:           4
        .value_kind:     hidden_block_count_y
      - .offset:         32
        .size:           4
        .value_kind:     hidden_block_count_z
      - .offset:         36
        .size:           2
        .value_kind:     hidden_group_size_x
      - .offset:         38
        .size:           2
        .value_kind:     hidden_group_size_y
      - .offset:         40
        .size:           2
        .value_kind:     hidden_group_size_z
      - .offset:         42
        .size:           2
        .value_kind:     hidden_remainder_x
      - .offset:         44
        .size:           2
        .value_kind:     hidden_remainder_y
      - .offset:         46
        .size:           2
        .value_kind:     hidden_remainder_z
      - .offset:         64
        .size:           8
        .value_kind:     hidden_global_offset_x
      - .offset:         72
        .size:           8
        .value_kind:     hidden_global_offset_y
      - .offset:         80
        .size:           8
        .value_kind:     hidden_global_offset_z
      - .offset:         88
        .size:           2
        .value_kind:     hidden_grid_dims
    .group_segment_fixed_size: 0
    .kernarg_segment_align: 8
    .kernarg_segment_size: 280
    .language:       OpenCL C
    .language_version:
      - 2
      - 0
    .max_flat_workgroup_size: 1024
    .name:           _Z22pad_projections_kernelPdiiii
    .private_segment_fixed_size: 0
    .sgpr_count:     12
    .sgpr_spill_count: 0
    .symbol:         _Z22pad_projections_kernelPdiiii.kd
    .uniform_work_group_size: 1
    .uses_dynamic_stack: false
    .vgpr_count:     4
    .vgpr_spill_count: 0
    .wavefront_size: 64
  - .args:
      - .address_space:  global
        .offset:         0
        .size:           8
        .value_kind:     global_buffer
      - .offset:         8
        .size:           4
        .value_kind:     by_value
      - .offset:         16
        .size:           8
        .value_kind:     by_value
      - .offset:         24
        .size:           8
        .value_kind:     by_value
      - .offset:         32
        .size:           8
        .value_kind:     by_value
      - .offset:         40
        .size:           4
        .value_kind:     hidden_block_count_x
      - .offset:         44
        .size:           4
        .value_kind:     hidden_block_count_y
      - .offset:         48
        .size:           4
        .value_kind:     hidden_block_count_z
      - .offset:         52
        .size:           2
        .value_kind:     hidden_group_size_x
      - .offset:         54
        .size:           2
        .value_kind:     hidden_group_size_y
      - .offset:         56
        .size:           2
        .value_kind:     hidden_group_size_z
      - .offset:         58
        .size:           2
        .value_kind:     hidden_remainder_x
      - .offset:         60
        .size:           2
        .value_kind:     hidden_remainder_y
      - .offset:         62
        .size:           2
        .value_kind:     hidden_remainder_z
      - .offset:         80
        .size:           8
        .value_kind:     hidden_global_offset_x
      - .offset:         88
        .size:           8
        .value_kind:     hidden_global_offset_y
      - .offset:         96
        .size:           8
        .value_kind:     hidden_global_offset_z
      - .offset:         104
        .size:           2
        .value_kind:     hidden_grid_dims
    .group_segment_fixed_size: 0
    .kernarg_segment_align: 8
    .kernarg_segment_size: 296
    .language:       OpenCL C
    .language_version:
      - 2
      - 0
    .max_flat_workgroup_size: 1024
    .name:           _Z20map_boudaries_kernelPdiddd
    .private_segment_fixed_size: 0
    .sgpr_count:     12
    .sgpr_spill_count: 0
    .symbol:         _Z20map_boudaries_kernelPdiddd.kd
    .uniform_work_group_size: 1
    .uses_dynamic_stack: false
    .vgpr_count:     5
    .vgpr_spill_count: 0
    .wavefront_size: 64
  - .args:
      - .actual_access:  write_only
        .address_space:  global
        .offset:         0
        .size:           8
        .value_kind:     global_buffer
      - .actual_access:  write_only
        .address_space:  global
        .offset:         8
        .size:           8
        .value_kind:     global_buffer
      - .actual_access:  read_only
        .address_space:  global
        .offset:         16
        .size:           8
        .value_kind:     global_buffer
      - .actual_access:  read_only
        .address_space:  global
        .offset:         24
        .size:           8
        .value_kind:     global_buffer
      - .offset:         32
        .size:           8
        .value_kind:     by_value
      - .offset:         40
        .size:           8
        .value_kind:     by_value
      - .offset:         48
        .size:           8
        .value_kind:     by_value
      - .offset:         56
        .size:           4
        .value_kind:     by_value
      - .offset:         64
        .size:           4
        .value_kind:     hidden_block_count_x
      - .offset:         68
        .size:           4
        .value_kind:     hidden_block_count_y
      - .offset:         72
        .size:           4
        .value_kind:     hidden_block_count_z
      - .offset:         76
        .size:           2
        .value_kind:     hidden_group_size_x
      - .offset:         78
        .size:           2
        .value_kind:     hidden_group_size_y
      - .offset:         80
        .size:           2
        .value_kind:     hidden_group_size_z
      - .offset:         82
        .size:           2
        .value_kind:     hidden_remainder_x
      - .offset:         84
        .size:           2
        .value_kind:     hidden_remainder_y
      - .offset:         86
        .size:           2
        .value_kind:     hidden_remainder_z
      - .offset:         104
        .size:           8
        .value_kind:     hidden_global_offset_x
      - .offset:         112
        .size:           8
        .value_kind:     hidden_global_offset_y
      - .offset:         120
        .size:           8
        .value_kind:     hidden_global_offset_z
      - .offset:         128
        .size:           2
        .value_kind:     hidden_grid_dims
    .group_segment_fixed_size: 0
    .kernarg_segment_align: 8
    .kernarg_segment_size: 320
    .language:       OpenCL C
    .language_version:
      - 2
      - 0
    .max_flat_workgroup_size: 1024
    .name:           _Z19rot_detector_kernelPdS_PKdS1_dddi
    .private_segment_fixed_size: 0
    .sgpr_count:     42
    .sgpr_spill_count: 0
    .symbol:         _Z19rot_detector_kernelPdS_PKdS1_dddi.kd
    .uniform_work_group_size: 1
    .uses_dynamic_stack: false
    .vgpr_count:     45
    .vgpr_spill_count: 0
    .wavefront_size: 64
  - .args:
      - .actual_access:  write_only
        .address_space:  global
        .offset:         0
        .size:           8
        .value_kind:     global_buffer
      - .actual_access:  write_only
        .address_space:  global
        .offset:         8
        .size:           8
        .value_kind:     global_buffer
      - .offset:         16
        .size:           8
        .value_kind:     by_value
      - .offset:         24
        .size:           8
        .value_kind:     by_value
      - .offset:         32
        .size:           8
        .value_kind:     by_value
      - .actual_access:  read_only
        .address_space:  global
        .offset:         40
        .size:           8
        .value_kind:     global_buffer
      - .actual_access:  read_only
        .address_space:  global
        .offset:         48
        .size:           8
        .value_kind:     global_buffer
      - .actual_access:  read_only
        .address_space:  global
        .offset:         56
        .size:           8
        .value_kind:     global_buffer
      - .actual_access:  read_only
        .address_space:  global
        .offset:         64
        .size:           8
        .value_kind:     global_buffer
      - .offset:         72
        .size:           4
        .value_kind:     by_value
      - .offset:         76
        .size:           4
        .value_kind:     by_value
      - .offset:         80
        .size:           4
        .value_kind:     by_value
      - .offset:         88
        .size:           4
        .value_kind:     hidden_block_count_x
      - .offset:         92
        .size:           4
        .value_kind:     hidden_block_count_y
      - .offset:         96
        .size:           4
        .value_kind:     hidden_block_count_z
      - .offset:         100
        .size:           2
        .value_kind:     hidden_group_size_x
      - .offset:         102
        .size:           2
        .value_kind:     hidden_group_size_y
      - .offset:         104
        .size:           2
        .value_kind:     hidden_group_size_z
      - .offset:         106
        .size:           2
        .value_kind:     hidden_remainder_x
      - .offset:         108
        .size:           2
        .value_kind:     hidden_remainder_y
      - .offset:         110
        .size:           2
        .value_kind:     hidden_remainder_z
      - .offset:         128
        .size:           8
        .value_kind:     hidden_global_offset_x
      - .offset:         136
        .size:           8
        .value_kind:     hidden_global_offset_y
      - .offset:         144
        .size:           8
        .value_kind:     hidden_global_offset_z
      - .offset:         152
        .size:           2
        .value_kind:     hidden_grid_dims
    .group_segment_fixed_size: 0
    .kernarg_segment_align: 8
    .kernarg_segment_size: 344
    .language:       OpenCL C
    .language_version:
      - 2
      - 0
    .max_flat_workgroup_size: 1024
    .name:           _Z19mapDet2Slice_kernelPdS_dddPKdS1_S1_S1_iii
    .private_segment_fixed_size: 0
    .sgpr_count:     24
    .sgpr_spill_count: 0
    .symbol:         _Z19mapDet2Slice_kernelPdS_dddPKdS1_S1_S1_iii.kd
    .uniform_work_group_size: 1
    .uses_dynamic_stack: false
    .vgpr_count:     20
    .vgpr_spill_count: 0
    .wavefront_size: 64
  - .args:
      - .address_space:  global
        .offset:         0
        .size:           8
        .value_kind:     global_buffer
      - .offset:         8
        .size:           4
        .value_kind:     by_value
      - .offset:         12
        .size:           4
        .value_kind:     by_value
      - .offset:         16
        .size:           1
        .value_kind:     by_value
      - .offset:         20
        .size:           4
        .value_kind:     by_value
      - .offset:         24
        .size:           4
        .value_kind:     by_value
      - .offset:         28
        .size:           4
        .value_kind:     by_value
      - .offset:         32
        .size:           4
        .value_kind:     hidden_block_count_x
      - .offset:         36
        .size:           4
        .value_kind:     hidden_block_count_y
      - .offset:         40
        .size:           4
        .value_kind:     hidden_block_count_z
      - .offset:         44
        .size:           2
        .value_kind:     hidden_group_size_x
      - .offset:         46
        .size:           2
        .value_kind:     hidden_group_size_y
      - .offset:         48
        .size:           2
        .value_kind:     hidden_group_size_z
      - .offset:         50
        .size:           2
        .value_kind:     hidden_remainder_x
      - .offset:         52
        .size:           2
        .value_kind:     hidden_remainder_y
      - .offset:         54
        .size:           2
        .value_kind:     hidden_remainder_z
      - .offset:         72
        .size:           8
        .value_kind:     hidden_global_offset_x
      - .offset:         80
        .size:           8
        .value_kind:     hidden_global_offset_y
      - .offset:         88
        .size:           8
        .value_kind:     hidden_global_offset_z
      - .offset:         96
        .size:           2
        .value_kind:     hidden_grid_dims
    .group_segment_fixed_size: 0
    .kernarg_segment_align: 8
    .kernarg_segment_size: 288
    .language:       OpenCL C
    .language_version:
      - 2
      - 0
    .max_flat_workgroup_size: 1024
    .name:           _Z22img_integration_kernelPdiibiii
    .private_segment_fixed_size: 0
    .sgpr_count:     20
    .sgpr_spill_count: 0
    .symbol:         _Z22img_integration_kernelPdiibiii.kd
    .uniform_work_group_size: 1
    .uses_dynamic_stack: false
    .vgpr_count:     15
    .vgpr_spill_count: 0
    .wavefront_size: 64
  - .args:
      - .actual_access:  write_only
        .address_space:  global
        .offset:         0
        .size:           8
        .value_kind:     global_buffer
      - .actual_access:  read_only
        .address_space:  global
        .offset:         8
        .size:           8
        .value_kind:     global_buffer
      - .actual_access:  read_only
        .address_space:  global
        .offset:         16
        .size:           8
        .value_kind:     global_buffer
      - .actual_access:  read_only
        .address_space:  global
        .offset:         24
        .size:           8
        .value_kind:     global_buffer
      - .actual_access:  read_only
        .address_space:  global
        .offset:         32
        .size:           8
        .value_kind:     global_buffer
      - .actual_access:  read_only
        .address_space:  global
        .offset:         40
        .size:           8
        .value_kind:     global_buffer
      - .offset:         48
        .size:           4
        .value_kind:     by_value
      - .offset:         52
        .size:           4
        .value_kind:     by_value
      - .offset:         56
        .size:           4
        .value_kind:     by_value
      - .offset:         60
        .size:           4
        .value_kind:     by_value
      - .offset:         64
        .size:           4
        .value_kind:     by_value
      - .offset:         68
        .size:           4
        .value_kind:     by_value
      - .offset:         72
        .size:           4
        .value_kind:     by_value
      - .offset:         80
        .size:           4
        .value_kind:     hidden_block_count_x
      - .offset:         84
        .size:           4
        .value_kind:     hidden_block_count_y
      - .offset:         88
        .size:           4
        .value_kind:     hidden_block_count_z
      - .offset:         92
        .size:           2
        .value_kind:     hidden_group_size_x
      - .offset:         94
        .size:           2
        .value_kind:     hidden_group_size_y
      - .offset:         96
        .size:           2
        .value_kind:     hidden_group_size_z
      - .offset:         98
        .size:           2
        .value_kind:     hidden_remainder_x
      - .offset:         100
        .size:           2
        .value_kind:     hidden_remainder_y
      - .offset:         102
        .size:           2
        .value_kind:     hidden_remainder_z
      - .offset:         120
        .size:           8
        .value_kind:     hidden_global_offset_x
      - .offset:         128
        .size:           8
        .value_kind:     hidden_global_offset_y
      - .offset:         136
        .size:           8
        .value_kind:     hidden_global_offset_z
      - .offset:         144
        .size:           2
        .value_kind:     hidden_grid_dims
    .group_segment_fixed_size: 0
    .kernarg_segment_align: 8
    .kernarg_segment_size: 336
    .language:       OpenCL C
    .language_version:
      - 2
      - 0
    .max_flat_workgroup_size: 1024
    .name:           _Z29bilinear_interpolation_kernelPdPKdS1_S1_S1_S1_iiiiiii
    .private_segment_fixed_size: 0
    .sgpr_count:     28
    .sgpr_spill_count: 0
    .symbol:         _Z29bilinear_interpolation_kernelPdPKdS1_S1_S1_S1_iiiiiii.kd
    .uniform_work_group_size: 1
    .uses_dynamic_stack: false
    .vgpr_count:     21
    .vgpr_spill_count: 0
    .wavefront_size: 64
  - .args:
      - .address_space:  global
        .offset:         0
        .size:           8
        .value_kind:     global_buffer
      - .actual_access:  read_only
        .address_space:  global
        .offset:         8
        .size:           8
        .value_kind:     global_buffer
      - .offset:         16
        .size:           8
        .value_kind:     by_value
      - .offset:         24
        .size:           8
        .value_kind:     by_value
      - .offset:         32
        .size:           8
        .value_kind:     by_value
      - .actual_access:  read_only
        .address_space:  global
        .offset:         40
        .size:           8
        .value_kind:     global_buffer
      - .actual_access:  read_only
        .address_space:  global
        .offset:         48
        .size:           8
        .value_kind:     global_buffer
      - .actual_access:  read_only
        .address_space:  global
        .offset:         56
        .size:           8
        .value_kind:     global_buffer
      - .offset:         64
        .size:           4
        .value_kind:     by_value
      - .offset:         68
        .size:           4
        .value_kind:     by_value
      - .offset:         72
        .size:           4
        .value_kind:     by_value
      - .offset:         76
        .size:           4
        .value_kind:     by_value
      - .offset:         80
        .size:           8
        .value_kind:     by_value
      - .offset:         88
        .size:           8
        .value_kind:     by_value
      - .offset:         96
        .size:           8
        .value_kind:     by_value
      - .offset:         104
        .size:           8
        .value_kind:     by_value
      - .offset:         112
        .size:           8
        .value_kind:     by_value
      - .offset:         120
        .size:           4
        .value_kind:     by_value
      - .offset:         128
        .size:           4
        .value_kind:     hidden_block_count_x
      - .offset:         132
        .size:           4
        .value_kind:     hidden_block_count_y
      - .offset:         136
        .size:           4
        .value_kind:     hidden_block_count_z
      - .offset:         140
        .size:           2
        .value_kind:     hidden_group_size_x
      - .offset:         142
        .size:           2
        .value_kind:     hidden_group_size_y
      - .offset:         144
        .size:           2
        .value_kind:     hidden_group_size_z
      - .offset:         146
        .size:           2
        .value_kind:     hidden_remainder_x
      - .offset:         148
        .size:           2
        .value_kind:     hidden_remainder_y
      - .offset:         150
        .size:           2
        .value_kind:     hidden_remainder_z
      - .offset:         168
        .size:           8
        .value_kind:     hidden_global_offset_x
      - .offset:         176
        .size:           8
        .value_kind:     hidden_global_offset_y
      - .offset:         184
        .size:           8
        .value_kind:     hidden_global_offset_z
      - .offset:         192
        .size:           2
        .value_kind:     hidden_grid_dims
    .group_segment_fixed_size: 0
    .kernarg_segment_align: 8
    .kernarg_segment_size: 384
    .language:       OpenCL C
    .language_version:
      - 2
      - 0
    .max_flat_workgroup_size: 1024
    .name:           _Z22differentiation_kernelPdPKddddS1_S1_S1_iiiidddddi
    .private_segment_fixed_size: 0
    .sgpr_count:     40
    .sgpr_spill_count: 0
    .symbol:         _Z22differentiation_kernelPdPKddddS1_S1_S1_iiiidddddi.kd
    .uniform_work_group_size: 1
    .uses_dynamic_stack: false
    .vgpr_count:     45
    .vgpr_spill_count: 0
    .wavefront_size: 64
  - .args:
      - .address_space:  global
        .offset:         0
        .size:           8
        .value_kind:     global_buffer
      - .offset:         8
        .size:           4
        .value_kind:     by_value
      - .offset:         12
        .size:           4
        .value_kind:     by_value
      - .offset:         16
        .size:           4
        .value_kind:     by_value
      - .offset:         20
        .size:           4
        .value_kind:     by_value
      - .offset:         24
        .size:           4
        .value_kind:     hidden_block_count_x
      - .offset:         28
        .size:           4
        .value_kind:     hidden_block_count_y
      - .offset:         32
        .size:           4
        .value_kind:     hidden_block_count_z
      - .offset:         36
        .size:           2
        .value_kind:     hidden_group_size_x
      - .offset:         38
        .size:           2
        .value_kind:     hidden_group_size_y
      - .offset:         40
        .size:           2
        .value_kind:     hidden_group_size_z
      - .offset:         42
        .size:           2
        .value_kind:     hidden_remainder_x
      - .offset:         44
        .size:           2
        .value_kind:     hidden_remainder_y
      - .offset:         46
        .size:           2
        .value_kind:     hidden_remainder_z
      - .offset:         64
        .size:           8
        .value_kind:     hidden_global_offset_x
      - .offset:         72
        .size:           8
        .value_kind:     hidden_global_offset_y
      - .offset:         80
        .size:           8
        .value_kind:     hidden_global_offset_z
      - .offset:         88
        .size:           2
        .value_kind:     hidden_grid_dims
    .group_segment_fixed_size: 0
    .kernarg_segment_align: 8
    .kernarg_segment_size: 280
    .language:       OpenCL C
    .language_version:
      - 2
      - 0
    .max_flat_workgroup_size: 1024
    .name:           _Z15division_kernelPdiiii
    .private_segment_fixed_size: 0
    .sgpr_count:     20
    .sgpr_spill_count: 0
    .symbol:         _Z15division_kernelPdiiii.kd
    .uniform_work_group_size: 1
    .uses_dynamic_stack: false
    .vgpr_count:     14
    .vgpr_spill_count: 0
    .wavefront_size: 64
amdhsa.target:   amdgcn-amd-amdhsa--gfx906
amdhsa.version:
  - 1
  - 2
...

	.end_amdgpu_metadata
